;; amdgpu-corpus repo=ROCm/rocFFT kind=compiled arch=gfx1201 opt=O3
	.text
	.amdgcn_target "amdgcn-amd-amdhsa--gfx1201"
	.amdhsa_code_object_version 6
	.protected	bluestein_single_fwd_len714_dim1_half_op_CI_CI ; -- Begin function bluestein_single_fwd_len714_dim1_half_op_CI_CI
	.globl	bluestein_single_fwd_len714_dim1_half_op_CI_CI
	.p2align	8
	.type	bluestein_single_fwd_len714_dim1_half_op_CI_CI,@function
bluestein_single_fwd_len714_dim1_half_op_CI_CI: ; @bluestein_single_fwd_len714_dim1_half_op_CI_CI
; %bb.0:
	s_load_b128 s[12:15], s[0:1], 0x28
	v_mul_u32_u24_e32 v1, 0x506, v0
	s_mov_b32 s2, exec_lo
	v_mov_b32_e32 v23, 0
	s_delay_alu instid0(VALU_DEP_2) | instskip(NEXT) | instid1(VALU_DEP_1)
	v_lshrrev_b32_e32 v1, 16, v1
	v_add_nc_u32_e32 v22, ttmp9, v1
	s_wait_kmcnt 0x0
	s_delay_alu instid0(VALU_DEP_1)
	v_cmpx_gt_u64_e64 s[12:13], v[22:23]
	s_cbranch_execz .LBB0_23
; %bb.1:
	s_clause 0x1
	s_load_b128 s[4:7], s[0:1], 0x18
	s_load_b64 s[12:13], s[0:1], 0x0
	v_mul_lo_u16 v1, v1, 51
	s_movk_i32 s2, 0xfe57
	s_mov_b32 s3, -1
	s_delay_alu instid0(VALU_DEP_1) | instskip(NEXT) | instid1(VALU_DEP_1)
	v_sub_nc_u16 v7, v0, v1
	v_and_b32_e32 v59, 0xffff, v7
	s_delay_alu instid0(VALU_DEP_1)
	v_lshlrev_b32_e32 v41, 2, v59
	s_wait_kmcnt 0x0
	s_load_b128 s[8:11], s[4:5], 0x0
	s_clause 0x8
	global_load_b32 v60, v41, s[12:13] offset:1904
	global_load_b32 v63, v41, s[12:13]
	global_load_b32 v57, v41, s[12:13] offset:204
	global_load_b32 v52, v41, s[12:13] offset:408
	;; [unrolled: 1-line block ×7, first 2 shown]
	s_wait_kmcnt 0x0
	v_mad_co_u64_u32 v[0:1], null, s10, v22, 0
	v_mad_co_u64_u32 v[2:3], null, s8, v59, 0
	s_mul_u64 s[4:5], s[8:9], 0xee
	s_mul_u64 s[2:3], s[8:9], s[2:3]
	s_delay_alu instid0(SALU_CYCLE_1) | instskip(NEXT) | instid1(VALU_DEP_1)
	s_lshl_b64 s[2:3], s[2:3], 2
	v_mad_co_u64_u32 v[4:5], null, s11, v22, v[1:2]
	s_lshl_b64 s[10:11], s[4:5], 2
	s_delay_alu instid0(VALU_DEP_1) | instskip(SKIP_1) | instid1(VALU_DEP_1)
	v_mad_co_u64_u32 v[5:6], null, s9, v59, v[3:4]
	v_dual_mov_b32 v1, v4 :: v_dual_add_nc_u32 v4, 0x400, v41
	v_lshlrev_b64_e32 v[0:1], 2, v[0:1]
	s_delay_alu instid0(VALU_DEP_3) | instskip(NEXT) | instid1(VALU_DEP_2)
	v_mov_b32_e32 v3, v5
	v_add_co_u32 v0, vcc_lo, s14, v0
	s_delay_alu instid0(VALU_DEP_2) | instskip(NEXT) | instid1(VALU_DEP_4)
	v_lshlrev_b64_e32 v[2:3], 2, v[2:3]
	v_add_co_ci_u32_e32 v1, vcc_lo, s15, v1, vcc_lo
	v_add_co_u32 v20, s14, s12, v41
	s_wait_alu 0xf1ff
	v_add_co_ci_u32_e64 v21, null, s13, 0, s14
	s_delay_alu instid0(VALU_DEP_4)
	v_add_co_u32 v0, vcc_lo, v0, v2
	s_wait_alu 0xfffd
	v_add_co_ci_u32_e32 v1, vcc_lo, v1, v3, vcc_lo
	s_clause 0x2
	global_load_b32 v54, v41, s[12:13] offset:2108
	global_load_b32 v48, v41, s[12:13] offset:2312
	;; [unrolled: 1-line block ×3, first 2 shown]
	global_load_b32 v5, v[0:1], off
	s_wait_alu 0xfffe
	v_add_co_u32 v2, vcc_lo, v0, s10
	s_wait_alu 0xfffd
	v_add_co_ci_u32_e32 v3, vcc_lo, s11, v1, vcc_lo
	s_delay_alu instid0(VALU_DEP_2) | instskip(SKIP_1) | instid1(VALU_DEP_2)
	v_add_co_u32 v0, vcc_lo, v2, s10
	s_wait_alu 0xfffd
	v_add_co_ci_u32_e32 v1, vcc_lo, s11, v3, vcc_lo
	s_clause 0x1
	global_load_b32 v6, v[2:3], off
	global_load_b32 v8, v[0:1], off
	v_add_co_u32 v2, vcc_lo, v0, s2
	s_wait_alu 0xfffd
	v_add_co_ci_u32_e32 v3, vcc_lo, s3, v1, vcc_lo
	s_delay_alu instid0(VALU_DEP_2) | instskip(SKIP_1) | instid1(VALU_DEP_2)
	v_add_co_u32 v0, vcc_lo, v2, s10
	s_wait_alu 0xfffd
	v_add_co_ci_u32_e32 v1, vcc_lo, s11, v3, vcc_lo
	s_clause 0x1
	global_load_b32 v9, v[2:3], off
	global_load_b32 v10, v[0:1], off
	v_add_co_u32 v0, vcc_lo, v0, s10
	s_wait_alu 0xfffd
	v_add_co_ci_u32_e32 v1, vcc_lo, s11, v1, vcc_lo
	s_delay_alu instid0(VALU_DEP_2) | instskip(SKIP_1) | instid1(VALU_DEP_2)
	v_add_co_u32 v2, vcc_lo, v0, s2
	s_wait_alu 0xfffd
	v_add_co_ci_u32_e32 v3, vcc_lo, s3, v1, vcc_lo
	global_load_b32 v11, v[0:1], off
	global_load_b32 v12, v[2:3], off
	v_add_co_u32 v0, vcc_lo, v2, s10
	s_wait_alu 0xfffd
	v_add_co_ci_u32_e32 v1, vcc_lo, s11, v3, vcc_lo
	s_delay_alu instid0(VALU_DEP_2) | instskip(SKIP_1) | instid1(VALU_DEP_2)
	v_add_co_u32 v2, vcc_lo, v0, s10
	s_wait_alu 0xfffd
	v_add_co_ci_u32_e32 v3, vcc_lo, s11, v1, vcc_lo
	global_load_b32 v13, v[0:1], off
	v_add_co_u32 v0, vcc_lo, v2, s2
	s_wait_alu 0xfffd
	v_add_co_ci_u32_e32 v1, vcc_lo, s3, v3, vcc_lo
	global_load_b32 v14, v[2:3], off
	;; [unrolled: 4-line block ×4, first 2 shown]
	global_load_b32 v3, v[0:1], off
	s_load_b64 s[8:9], s[0:1], 0x38
	s_load_b128 s[4:7], s[6:7], 0x0
	v_cmp_gt_u16_e32 vcc_lo, 34, v7
	s_wait_loadcnt 0x13
	v_lshrrev_b32_e32 v58, 16, v56
	v_lshrrev_b32_e32 v66, 16, v63
	;; [unrolled: 1-line block ×3, first 2 shown]
	s_wait_loadcnt 0x10
	v_lshrrev_b32_e32 v65, 16, v64
	v_lshrrev_b32_e32 v61, 16, v57
	v_lshrrev_b32_e32 v53, 16, v52
	v_lshrrev_b32_e32 v51, 16, v50
	s_wait_loadcnt 0xf
	v_lshrrev_b32_e32 v47, 16, v46
	v_lshrrev_b32_e32 v45, 16, v44
	s_wait_loadcnt 0xe
	v_lshrrev_b32_e32 v55, 16, v54
	s_wait_loadcnt 0xd
	;; [unrolled: 2-line block ×4, first 2 shown]
	v_lshrrev_b32_e32 v16, 16, v5
	v_mul_f16_e32 v17, v66, v5
	s_delay_alu instid0(VALU_DEP_2) | instskip(NEXT) | instid1(VALU_DEP_2)
	v_mul_f16_e32 v18, v66, v16
	v_fma_f16 v16, v63, v16, -v17
	s_wait_loadcnt 0xa
	v_lshrrev_b32_e32 v19, 16, v6
	v_mul_f16_e32 v23, v65, v6
	v_fmac_f16_e32 v18, v63, v5
	s_wait_loadcnt 0x9
	v_lshrrev_b32_e32 v17, 16, v8
	v_mul_f16_e32 v5, v65, v19
	v_fma_f16 v19, v64, v19, -v23
	v_mul_f16_e32 v23, v62, v8
	v_pack_b32_f16 v16, v18, v16
	s_delay_alu instid0(VALU_DEP_4) | instskip(SKIP_1) | instid1(VALU_DEP_4)
	v_fmac_f16_e32 v5, v64, v6
	v_mul_f16_e32 v6, v62, v17
	v_fma_f16 v17, v60, v17, -v23
	s_wait_loadcnt 0x8
	v_lshrrev_b32_e32 v18, 16, v9
	v_mul_f16_e32 v23, v61, v9
	v_pack_b32_f16 v5, v5, v19
	v_fmac_f16_e32 v6, v60, v8
	s_wait_loadcnt 0x7
	v_lshrrev_b32_e32 v19, 16, v10
	v_mul_f16_e32 v8, v61, v18
	v_mul_f16_e32 v24, v58, v10
	v_fma_f16 v18, v57, v18, -v23
	v_pack_b32_f16 v6, v6, v17
	ds_store_b32 v41, v5 offset:952
	ds_store_b32 v41, v6 offset:1904
	v_fmac_f16_e32 v8, v57, v9
	v_mul_f16_e32 v9, v58, v19
	v_fma_f16 v17, v56, v19, -v24
	s_wait_loadcnt 0x6
	v_lshrrev_b32_e32 v19, 16, v11
	v_mul_f16_e32 v23, v55, v11
	v_pack_b32_f16 v5, v8, v18
	v_fmac_f16_e32 v9, v56, v10
	s_wait_loadcnt 0x5
	v_lshrrev_b32_e32 v10, 16, v12
	v_mul_f16_e32 v6, v55, v19
	v_fma_f16 v8, v54, v19, -v23
	v_mul_f16_e32 v18, v53, v12
	ds_store_2addr_b32 v41, v16, v5 offset1:51
	v_pack_b32_f16 v5, v9, v17
	v_fmac_f16_e32 v6, v54, v11
	v_mul_f16_e32 v9, v53, v10
	s_wait_loadcnt 0x4
	v_lshrrev_b32_e32 v11, 16, v13
	v_fma_f16 v10, v52, v10, -v18
	v_mul_f16_e32 v16, v51, v13
	v_pack_b32_f16 v6, v6, v8
	v_fmac_f16_e32 v9, v52, v12
	v_mul_f16_e32 v8, v51, v11
	s_wait_loadcnt 0x3
	v_lshrrev_b32_e32 v12, 16, v14
	v_fma_f16 v11, v50, v11, -v16
	v_mul_f16_e32 v16, v49, v14
	;; [unrolled: 7-line block ×3, first 2 shown]
	v_pack_b32_f16 v8, v8, v11
	v_fmac_f16_e32 v10, v48, v14
	s_wait_loadcnt 0x1
	v_lshrrev_b32_e32 v14, 16, v2
	s_wait_loadcnt 0x0
	v_lshrrev_b32_e32 v17, 16, v3
	v_mul_f16_e32 v11, v47, v13
	v_fma_f16 v13, v46, v13, -v16
	v_mul_f16_e32 v16, v45, v2
	ds_store_2addr_b32 v4, v5, v8 offset0:33 offset1:84
	v_mul_f16_e32 v8, v45, v14
	v_mul_f16_e32 v18, v43, v17
	;; [unrolled: 1-line block ×3, first 2 shown]
	v_fmac_f16_e32 v11, v46, v15
	v_fma_f16 v14, v44, v14, -v16
	v_fmac_f16_e32 v8, v44, v2
	v_fmac_f16_e32 v18, v42, v3
	v_fma_f16 v2, v42, v17, -v5
	v_pack_b32_f16 v3, v10, v12
	v_add_nc_u32_e32 v5, 0x800, v41
	v_pack_b32_f16 v10, v11, v13
	v_pack_b32_f16 v8, v8, v14
	;; [unrolled: 1-line block ×3, first 2 shown]
	ds_store_2addr_b32 v5, v6, v3 offset0:15 offset1:66
	ds_store_2addr_b32 v41, v9, v10 offset0:102 offset1:153
	ds_store_b32 v41, v8 offset:1564
	ds_store_b32 v41, v2 offset:2516
	s_and_saveexec_b32 s14, vcc_lo
	s_cbranch_execz .LBB0_3
; %bb.2:
	v_add_co_u32 v0, s2, v0, s2
	s_wait_alu 0xf1ff
	v_add_co_ci_u32_e64 v1, s2, s3, v1, s2
	global_load_b32 v8, v[20:21], off offset:816
	v_add_co_u32 v2, s2, v0, s10
	s_wait_alu 0xf1ff
	v_add_co_ci_u32_e64 v3, s2, s11, v1, s2
	s_delay_alu instid0(VALU_DEP_2) | instskip(SKIP_1) | instid1(VALU_DEP_2)
	v_add_co_u32 v6, s2, v2, s10
	s_wait_alu 0xf1ff
	v_add_co_ci_u32_e64 v7, s2, s11, v3, s2
	global_load_b32 v9, v[20:21], off offset:1768
	global_load_b32 v0, v[0:1], off
	global_load_b32 v1, v[20:21], off offset:2720
	global_load_b32 v2, v[2:3], off
	global_load_b32 v3, v[6:7], off
	s_wait_loadcnt 0x5
	v_lshrrev_b32_e32 v6, 16, v8
	s_wait_loadcnt 0x4
	v_lshrrev_b32_e32 v7, 16, v9
	;; [unrolled: 2-line block ×3, first 2 shown]
	v_mul_f16_e32 v11, v6, v0
	s_wait_loadcnt 0x1
	v_lshrrev_b32_e32 v13, 16, v2
	v_lshrrev_b32_e32 v12, 16, v1
	s_wait_loadcnt 0x0
	v_lshrrev_b32_e32 v14, 16, v3
	v_mul_f16_e32 v6, v6, v10
	v_fma_f16 v10, v8, v10, -v11
	v_mul_f16_e32 v11, v7, v2
	v_mul_f16_e32 v7, v7, v13
	;; [unrolled: 1-line block ×4, first 2 shown]
	v_fmac_f16_e32 v6, v8, v0
	v_fma_f16 v0, v9, v13, -v11
	v_fmac_f16_e32 v7, v9, v2
	v_fmac_f16_e32 v15, v1, v3
	v_fma_f16 v1, v1, v14, -v12
	v_pack_b32_f16 v2, v6, v10
	v_add_nc_u32_e32 v3, 0x300, v41
	v_pack_b32_f16 v0, v7, v0
	s_delay_alu instid0(VALU_DEP_4)
	v_pack_b32_f16 v1, v15, v1
	ds_store_2addr_b32 v3, v2, v0 offset0:12 offset1:250
	ds_store_b32 v41, v1 offset:2720
.LBB0_3:
	s_wait_alu 0xfffe
	s_or_b32 exec_lo, exec_lo, s14
	v_add_nc_u32_e32 v0, 0x200, v41
	v_add_nc_u32_e32 v1, 0x600, v41
	global_wb scope:SCOPE_SE
	s_wait_dscnt 0x0
	s_wait_kmcnt 0x0
	s_barrier_signal -1
	s_barrier_wait -1
	global_inv scope:SCOPE_SE
	ds_load_2addr_b32 v[10:11], v41 offset1:51
	ds_load_2addr_b32 v[12:13], v0 offset0:110 offset1:161
	ds_load_2addr_b32 v[8:9], v1 offset0:92 offset1:143
	;; [unrolled: 1-line block ×5, first 2 shown]
                                        ; implicit-def: $vgpr14
                                        ; implicit-def: $vgpr5
	s_and_saveexec_b32 s2, vcc_lo
	s_cbranch_execz .LBB0_5
; %bb.4:
	v_add_nc_u32_e32 v4, 0x300, v41
	ds_load_2addr_b32 v[4:5], v4 offset0:12 offset1:250
	ds_load_b32 v14, v41 offset:2720
.LBB0_5:
	s_wait_alu 0xfffe
	s_or_b32 exec_lo, exec_lo, s2
	s_wait_dscnt 0x3
	v_pk_add_f16 v15, v12, v8
	v_pk_add_f16 v16, v12, v8 neg_lo:[0,1] neg_hi:[0,1]
	v_pk_add_f16 v12, v10, v12
	s_load_b64 s[2:3], s[0:1], 0x8
	v_add_nc_u32_e32 v18, 51, v59
	v_pk_fma_f16 v10, v15, 0.5, v10 op_sel_hi:[1,0,1] neg_lo:[1,0,0] neg_hi:[1,0,0]
	v_pk_mul_f16 v15, 0x3aee, v16 op_sel_hi:[0,1]
	v_pk_add_f16 v16, v12, v8
	v_pk_add_f16 v8, v13, v9
	;; [unrolled: 1-line block ×3, first 2 shown]
	v_add_nc_u32_e32 v34, 0x66, v59
	v_pk_add_f16 v17, v10, v15 op_sel:[0,1] op_sel_hi:[1,0]
	v_pk_add_f16 v24, v10, v15 op_sel:[0,1] op_sel_hi:[1,0] neg_lo:[0,1] neg_hi:[0,1]
	v_pk_add_f16 v10, v13, v9 neg_lo:[0,1] neg_hi:[0,1]
	s_wait_dscnt 0x0
	v_pk_add_f16 v13, v6, v0
	v_pk_add_f16 v15, v6, v0 neg_lo:[0,1] neg_hi:[0,1]
	v_pk_add_f16 v6, v2, v6
	v_pk_fma_f16 v8, v8, 0.5, v11 op_sel_hi:[1,0,1] neg_lo:[1,0,0] neg_hi:[1,0,0]
	v_pk_mul_f16 v10, 0x3aee, v10 op_sel_hi:[0,1]
	v_pk_add_f16 v19, v12, v9
	v_pk_add_f16 v9, v5, v14 neg_lo:[0,1] neg_hi:[0,1]
	v_pk_add_f16 v25, v6, v0
	v_pk_add_f16 v0, v7, v1
	v_pk_add_f16 v6, v7, v1 neg_lo:[0,1] neg_hi:[0,1]
	v_pk_add_f16 v7, v3, v7
	v_pk_add_f16 v23, v8, v10 op_sel:[0,1] op_sel_hi:[1,0]
	v_pk_add_f16 v35, v8, v10 op_sel:[0,1] op_sel_hi:[1,0] neg_lo:[0,1] neg_hi:[0,1]
	v_pk_fma_f16 v0, v0, 0.5, v3 op_sel_hi:[1,0,1] neg_lo:[1,0,0] neg_hi:[1,0,0]
	v_pk_mul_f16 v3, 0x3aee, v6 op_sel_hi:[0,1]
	v_pk_add_f16 v8, v14, v5
	v_pk_fma_f16 v2, v13, 0.5, v2 op_sel_hi:[1,0,1] neg_lo:[1,0,0] neg_hi:[1,0,0]
	v_pk_mul_f16 v11, 0x3aee, v15 op_sel_hi:[0,1]
	v_pk_add_f16 v30, v7, v1
	v_pk_add_f16 v31, v0, v3 op_sel:[0,1] op_sel_hi:[1,0]
	v_pk_add_f16 v32, v0, v3 op_sel:[0,1] op_sel_hi:[1,0] neg_lo:[0,1] neg_hi:[0,1]
	v_mul_lo_u16 v0, v59, 3
	v_pk_add_f16 v1, v5, v4
	v_add_nc_u32_e32 v37, 0x99, v59
	v_pk_fma_f16 v6, v8, 0.5, v4 op_sel_hi:[1,0,1] neg_lo:[1,0,0] neg_hi:[1,0,0]
	v_pk_mul_f16 v8, 0x3aee, v9 op_sel_hi:[0,1]
	v_and_b32_e32 v0, 0xffff, v0
	v_pk_add_f16 v26, v2, v11 op_sel:[0,1] op_sel_hi:[1,0]
	v_pk_add_f16 v29, v2, v11 op_sel:[0,1] op_sel_hi:[1,0] neg_lo:[0,1] neg_hi:[0,1]
	v_pk_add_f16 v27, v14, v1
	v_mul_u32_u24_e32 v1, 3, v18
	v_lshlrev_b32_e32 v40, 2, v0
	v_bfi_b32 v0, 0xffff, v24, v17
	v_bfi_b32 v2, 0xffff, v17, v24
	v_add_co_u32 v38, null, 0xcc, v59
	v_pk_add_f16 v28, v6, v8 op_sel:[0,1] op_sel_hi:[1,0]
	global_wb scope:SCOPE_SE
	s_wait_kmcnt 0x0
	s_barrier_signal -1
	s_barrier_wait -1
	global_inv scope:SCOPE_SE
	v_mul_u32_u24_e32 v4, 3, v34
	ds_store_b32 v40, v16
	ds_store_2addr_b32 v40, v2, v0 offset0:1 offset1:2
	v_mul_u32_u24_e32 v0, 3, v37
	v_lshlrev_b32_e32 v39, 2, v1
	v_bfi_b32 v1, 0xffff, v35, v23
	v_bfi_b32 v3, 0xffff, v23, v35
	v_pk_add_f16 v33, v6, v8 op_sel:[0,1] op_sel_hi:[1,0] neg_lo:[0,1] neg_hi:[0,1]
	v_lshrrev_b32_e32 v36, 16, v28
	v_lshlrev_b32_e32 v75, 2, v4
	v_lshlrev_b32_e32 v76, 2, v0
	v_mul_u32_u24_e32 v74, 3, v38
	ds_store_b32 v39, v19
	ds_store_2addr_b32 v39, v3, v1 offset0:1 offset1:2
	v_bfi_b32 v1, 0xffff, v29, v26
	v_bfi_b32 v2, 0xffff, v26, v29
	;; [unrolled: 1-line block ×4, first 2 shown]
	ds_store_b32 v75, v25
	ds_store_2addr_b32 v75, v2, v1 offset0:1 offset1:2
	ds_store_b32 v76, v30
	ds_store_2addr_b32 v76, v3, v0 offset0:1 offset1:2
	s_and_saveexec_b32 s0, vcc_lo
	s_cbranch_execz .LBB0_7
; %bb.6:
	v_lshlrev_b32_e32 v0, 2, v74
	v_bfi_b32 v1, 0xffff, v28, v33
	v_perm_b32 v2, v36, v33, 0x5040100
	ds_store_b32 v0, v27
	ds_store_2addr_b32 v0, v1, v2 offset0:1 offset1:2
.LBB0_7:
	s_wait_alu 0xfffe
	s_or_b32 exec_lo, exec_lo, s0
	v_lshrrev_b32_e32 v88, 16, v17
	v_lshrrev_b32_e32 v38, 16, v23
	v_lshrrev_b32_e32 v91, 16, v26
	v_lshrrev_b32_e32 v89, 16, v31
	v_cmp_gt_u16_e64 s0, 42, v59
	global_wb scope:SCOPE_SE
	s_wait_dscnt 0x0
	s_barrier_signal -1
	s_barrier_wait -1
	global_inv scope:SCOPE_SE
                                        ; implicit-def: $vgpr34
                                        ; implicit-def: $vgpr92
                                        ; implicit-def: $vgpr37
                                        ; implicit-def: $vgpr90
	s_and_saveexec_b32 s1, s0
	s_cbranch_execz .LBB0_9
; %bb.8:
	v_add_nc_u32_e32 v0, 0x400, v41
	v_add_nc_u32_e32 v2, 0x800, v41
	;; [unrolled: 1-line block ×4, first 2 shown]
	ds_load_2addr_b32 v[18:19], v41 offset0:84 offset1:126
	ds_load_2addr_b32 v[23:24], v41 offset0:168 offset1:210
	ds_load_b32 v37, v41 offset:2688
	ds_load_2addr_b32 v[29:30], v0 offset0:80 offset1:122
	ds_load_2addr_b32 v[31:32], v0 offset0:164 offset1:206
	;; [unrolled: 1-line block ×5, first 2 shown]
	ds_load_2addr_b32 v[16:17], v41 offset1:42
	s_wait_dscnt 0x5
	v_lshrrev_b32_e32 v91, 16, v29
	s_wait_dscnt 0x4
	v_lshrrev_b32_e32 v89, 16, v32
	v_lshrrev_b32_e32 v88, 16, v18
	;; [unrolled: 1-line block ×4, first 2 shown]
	v_bfi_b32 v35, 0xffff, v24, v23
	s_wait_dscnt 0x3
	v_lshrrev_b32_e32 v36, 16, v33
	v_lshrrev_b32_e32 v92, 16, v34
	s_wait_dscnt 0x2
	v_bfi_b32 v33, 0xffff, v33, v28
	v_bfi_b32 v32, 0xffff, v32, v31
	s_wait_dscnt 0x1
	v_bfi_b32 v29, 0xffff, v29, v26
	s_wait_dscnt 0x0
	v_bfi_b32 v24, 0xffff, v18, v17
.LBB0_9:
	s_wait_alu 0xfffe
	s_or_b32 exec_lo, exec_lo, s1
	v_and_b32_e32 v0, 0xff, v59
	s_delay_alu instid0(VALU_DEP_2)
	v_lshrrev_b32_e32 v93, 16, v24
	v_lshrrev_b32_e32 v96, 16, v25
	;; [unrolled: 1-line block ×4, first 2 shown]
	v_mul_lo_u16 v0, 0xab, v0
	v_lshrrev_b32_e32 v101, 16, v33
	v_lshrrev_b32_e32 v95, 16, v35
	;; [unrolled: 1-line block ×4, first 2 shown]
	v_lshrrev_b16 v68, 9, v0
	v_lshrrev_b32_e32 v100, 16, v27
	v_lshrrev_b32_e32 v18, 16, v16
	s_delay_alu instid0(VALU_DEP_3) | instskip(NEXT) | instid1(VALU_DEP_1)
	v_mul_lo_u16 v0, v68, 3
	v_sub_nc_u16 v0, v59, v0
	s_delay_alu instid0(VALU_DEP_1) | instskip(NEXT) | instid1(VALU_DEP_1)
	v_and_b32_e32 v67, 0xff, v0
	v_lshlrev_b32_e32 v12, 6, v67
	s_clause 0x3
	global_load_b128 v[8:11], v12, s[2:3]
	global_load_b128 v[0:3], v12, s[2:3] offset:16
	global_load_b128 v[4:7], v12, s[2:3] offset:32
	;; [unrolled: 1-line block ×3, first 2 shown]
	global_wb scope:SCOPE_SE
	s_wait_loadcnt 0x0
	s_barrier_signal -1
	s_barrier_wait -1
	global_inv scope:SCOPE_SE
	v_lshrrev_b32_e32 v85, 16, v8
	v_lshrrev_b32_e32 v78, 16, v0
	;; [unrolled: 1-line block ×6, first 2 shown]
	v_mul_f16_e32 v102, v93, v85
	v_mul_f16_e32 v118, v17, v85
	;; [unrolled: 1-line block ×3, first 2 shown]
	v_mul_f16_e64 v143, v90, v87
	v_mul_f16_e32 v106, v37, v87
	v_lshrrev_b32_e32 v82, 16, v10
	v_lshrrev_b32_e32 v71, 16, v2
	;; [unrolled: 1-line block ×5, first 2 shown]
	v_mul_f16_e32 v103, v88, v84
	v_mul_f16_e32 v119, v24, v84
	;; [unrolled: 1-line block ×3, first 2 shown]
	v_mul_f16_e64 v142, v92, v86
	v_mul_f16_e32 v107, v34, v86
	v_fmac_f16_e32 v118, v93, v8
	v_fma_f16 v135, v35, v0, -v116
	v_fma_f16 v137, v17, v8, -v102
	;; [unrolled: 1-line block ×3, first 2 shown]
	v_fmac_f16_e32 v106, v90, v15
	v_lshrrev_b32_e32 v80, 16, v11
	v_lshrrev_b32_e32 v72, 16, v5
	;; [unrolled: 1-line block ×3, first 2 shown]
	v_mul_f16_e32 v104, v94, v82
	v_mul_f16_e32 v120, v19, v82
	;; [unrolled: 1-line block ×5, first 2 shown]
	v_mul_f16_e64 v140, v101, v81
	v_mul_f16_e64 v141, v36, v83
	v_mul_f16_e32 v108, v33, v83
	v_fma_f16 v131, v25, v1, -v123
	v_fma_f16 v136, v24, v9, -v103
	v_fmac_f16_e32 v119, v88, v9
	v_fma_f16 v123, v34, v14, -v142
	v_fmac_f16_e32 v107, v92, v14
	v_sub_f16_e64 v25, v137, v116
	v_sub_f16_e64 v169, v118, v106
	v_lshrrev_b32_e32 v70, 16, v4
	v_lshrrev_b32_e32 v79, 16, v7
	v_mul_f16_e32 v105, v95, v80
	v_mul_f16_e32 v121, v23, v80
	;; [unrolled: 1-line block ×7, first 2 shown]
	v_fma_f16 v134, v19, v10, -v104
	v_fma_f16 v130, v26, v2, -v124
	v_fmac_f16_e32 v120, v94, v10
	v_fma_f16 v132, v29, v3, -v125
	v_fma_f16 v125, v28, v12, -v140
	;; [unrolled: 1-line block ×3, first 2 shown]
	v_fmac_f16_e32 v108, v36, v13
	v_add_f16_e64 v161, v137, v116
	v_add_f16_e32 v29, v118, v106
	v_sub_f16_e64 v28, v136, v123
	v_sub_f16_e32 v26, v119, v107
	v_mul_f16_e64 v185, 0xb5c8, v169
	v_mul_f16_e64 v182, 0xb5c8, v25
	;; [unrolled: 1-line block ×6, first 2 shown]
	v_mul_f16_e32 v122, v35, v78
	v_mul_f16_e32 v126, v98, v70
	v_mul_f16_e32 v112, v31, v72
	v_mul_f16_e64 v138, v89, v77
	v_mul_f16_e64 v139, v100, v79
	v_mul_f16_e32 v110, v27, v79
	v_fma_f16 v133, v23, v11, -v105
	v_fmac_f16_e32 v121, v95, v11
	v_fmac_f16_e32 v114, v91, v3
	v_fma_f16 v128, v31, v5, -v127
	v_fmac_f16_e32 v111, v89, v6
	v_fmac_f16_e32 v109, v101, v12
	v_add_f16_e64 v17, v136, v123
	v_add_f16_e32 v31, v119, v107
	v_sub_f16_e32 v33, v120, v108
	v_sub_f16_e64 v34, v134, v124
	v_mul_f16_e64 v180, 0xb964, v26
	v_mul_f16_e64 v183, 0xb964, v28
	;; [unrolled: 1-line block ×6, first 2 shown]
	v_fma_f16 v88, 0x3b76, v161, v185
	v_fma_f16 v89, v29, 0x3b76, -v182
	v_fma_f16 v91, 0x39e9, v161, v186
	v_fma_f16 v92, v29, 0x39e9, -v153
	;; [unrolled: 2-line block ×3, first 2 shown]
	v_fmac_f16_e32 v122, v38, v0
	v_fma_f16 v129, v30, v4, -v126
	v_fma_f16 v126, v27, v7, -v139
	v_fmac_f16_e32 v110, v100, v7
	v_add_f16_e64 v19, v134, v124
	v_add_f16_e32 v36, v120, v108
	v_sub_f16_e32 v35, v121, v109
	v_sub_f16_e64 v37, v133, v125
	v_mul_f16_e64 v178, 0xbb29, v33
	v_mul_f16_e64 v184, 0xbb29, v34
	;; [unrolled: 1-line block ×6, first 2 shown]
	v_fma_f16 v90, 0x39e9, v17, v180
	v_fma_f16 v93, v31, 0x39e9, -v183
	v_fma_f16 v188, 0x2de8, v17, v144
	v_fma_f16 v189, v31, 0x2de8, -v151
	v_fma_f16 v191, 0xb8d2, v17, v157
	v_fma_f16 v193, v31, 0xb8d2, -v162
	v_add_f16_e32 v88, v16, v88
	v_add_f16_e32 v89, v18, v89
	;; [unrolled: 1-line block ×4, first 2 shown]
	v_add_f16_e64 v190, v16, v190
	v_add_f16_e64 v192, v18, v192
	v_mul_f16_e32 v113, v30, v70
	v_fmac_f16_e32 v117, v96, v1
	v_fma_f16 v127, v32, v6, -v138
	v_add_f16_e64 v23, v133, v125
	v_add_f16_e32 v95, v121, v109
	v_sub_f16_e32 v38, v122, v110
	v_sub_f16_e64 v94, v135, v126
	v_mul_f16_e64 v176, 0xbbf7, v35
	v_mul_f16_e64 v181, 0xbbf7, v37
	;; [unrolled: 1-line block ×6, first 2 shown]
	v_fma_f16 v194, 0x3722, v19, v178
	v_fma_f16 v195, v36, 0x3722, -v184
	v_fma_f16 v196, 0xb8d2, v19, v143
	v_fma_f16 v197, v36, 0xb8d2, -v152
	;; [unrolled: 2-line block ×3, first 2 shown]
	v_add_f16_e32 v88, v90, v88
	v_add_f16_e32 v89, v93, v89
	v_add_f16_e64 v90, v188, v91
	v_add_f16_e64 v91, v189, v92
	;; [unrolled: 1-line block ×4, first 2 shown]
	v_fmac_f16_e32 v115, v97, v2
	v_fmac_f16_e32 v113, v98, v4
	;; [unrolled: 1-line block ×3, first 2 shown]
	v_add_f16_e64 v24, v135, v126
	v_add_f16_e32 v99, v122, v110
	v_sub_f16_e32 v96, v117, v111
	v_sub_f16_e64 v98, v131, v127
	v_mul_f16_e64 v174, 0xbbb2, v38
	v_mul_f16_e64 v179, 0xbbb2, v94
	v_mul_f16_e64 v140, 0x3836, v38
	v_mul_f16_e64 v147, 0x3836, v94
	v_mul_f16_e64 v160, 0x3964, v38
	v_mul_f16_e64 v166, 0x3964, v94
	v_fma_f16 v200, 0x2de8, v23, v176
	v_fma_f16 v201, v95, 0x2de8, -v181
	v_fma_f16 v202, 0xbbdd, v23, v139
	v_fma_f16 v203, v95, 0xbbdd, -v150
	v_fma_f16 v204, 0xb461, v23, v159
	v_fma_f16 v205, v95, 0xb461, -v165
	v_add_f16_e64 v88, v194, v88
	v_add_f16_e64 v89, v195, v89
	v_add_f16_e64 v90, v196, v90
	v_add_f16_e64 v91, v197, v91
	v_add_f16_e64 v92, v198, v92
	v_add_f16_e64 v93, v199, v93
	v_add_f16_e64 v27, v131, v127
	v_add_f16_e32 v102, v117, v111
	v_sub_f16_e32 v100, v115, v112
	v_sub_f16_e64 v101, v130, v128
	v_mul_f16_e64 v172, 0xba62, v96
	v_mul_f16_e64 v177, 0xba62, v98
	v_mul_f16_e64 v141, 0x3bb2, v96
	v_mul_f16_e64 v148, 0x3bb2, v98
	v_mul_f16_e64 v156, 0xb5c8, v96
	v_mul_f16_e64 v167, 0xb5c8, v98
	v_fma_f16 v206, 0xb461, v24, v174
	v_fma_f16 v207, v99, 0xb461, -v179
	v_fma_f16 v208, 0xbacd, v24, v140
	v_fma_f16 v209, v99, 0xbacd, -v147
	v_fma_f16 v210, 0x39e9, v24, v160
	v_fma_f16 v211, v99, 0x39e9, -v166
	v_add_f16_e64 v88, v200, v88
	v_add_f16_e64 v89, v201, v89
	v_add_f16_e64 v90, v202, v90
	v_add_f16_e64 v91, v203, v91
	v_add_f16_e64 v92, v204, v92
	v_add_f16_e64 v93, v205, v93
	v_add_f16_e64 v30, v130, v128
	v_add_f16_e32 v104, v115, v112
	v_sub_f16_e32 v97, v114, v113
	v_sub_f16_e64 v103, v132, v129
	v_mul_f16_e64 v171, 0xb836, v100
	v_mul_f16_e64 v175, 0xb836, v101
	v_mul_f16_e64 v138, 0x3b29, v100
	v_mul_f16_e64 v149, 0x3b29, v101
	v_mul_f16_e64 v155, 0xbbf7, v100
	v_mul_f16_e64 v168, 0xbbf7, v101
	v_fma_f16 v212, 0xb8d2, v27, v172
	v_fma_f16 v213, v102, 0xb8d2, -v177
	v_fma_f16 v214, 0xb461, v27, v141
	v_fma_f16 v215, v102, 0xb461, -v148
	v_fma_f16 v216, 0x3b76, v27, v156
	v_fma_f16 v217, v102, 0x3b76, -v167
	v_add_f16_e64 v88, v206, v88
	v_add_f16_e64 v89, v207, v89
	v_add_f16_e64 v90, v208, v90
	v_add_f16_e64 v91, v209, v91
	v_add_f16_e64 v92, v210, v92
	v_add_f16_e64 v93, v211, v93
	v_add_f16_e64 v32, v132, v129
	v_add_f16_e32 v105, v114, v113
	v_mul_f16_e64 v170, 0xb1e1, v97
	v_mul_f16_e64 v173, 0xb1e1, v103
	;; [unrolled: 1-line block ×6, first 2 shown]
	v_fma_f16 v218, 0xbacd, v30, v171
	v_fma_f16 v219, v104, 0xbacd, -v175
	v_fma_f16 v220, 0x3722, v30, v138
	v_fma_f16 v221, v104, 0x3722, -v149
	;; [unrolled: 2-line block ×3, first 2 shown]
	v_add_f16_e64 v88, v212, v88
	v_add_f16_e64 v89, v213, v89
	;; [unrolled: 1-line block ×6, first 2 shown]
	v_fma_f16 v224, 0xbbdd, v32, v170
	v_fma_f16 v225, v105, 0xbbdd, -v173
	v_fma_f16 v226, 0x3b76, v32, v142
	v_fma_f16 v227, v105, 0x3b76, -v146
	;; [unrolled: 2-line block ×3, first 2 shown]
	v_add_f16_e64 v88, v218, v88
	v_add_f16_e64 v89, v219, v89
	;; [unrolled: 1-line block ×12, first 2 shown]
	s_and_saveexec_b32 s1, s0
	s_cbranch_execz .LBB0_11
; %bb.10:
	v_add_f16_e32 v118, v18, v118
	v_add_f16_e64 v137, v16, v137
	v_mul_f16_e64 v188, 0x3722, v161
	v_mul_f16_e64 v189, 0xbbf7, v169
	;; [unrolled: 1-line block ×3, first 2 shown]
	v_add_f16_e32 v118, v118, v119
	v_add_f16_e64 v136, v137, v136
	v_sub_f16_e64 v187, v188, v187
	v_mul_f16_e64 v188, 0x39e9, v161
	v_mul_f16_e64 v191, 0xbbb2, v169
	v_add_f16_e32 v118, v118, v120
	v_add_f16_e64 v119, v136, v134
	v_mul_f16_e32 v120, 0x3b76, v29
	v_sub_f16_e64 v188, v188, v186
	v_mul_f16_e64 v186, 0xb1e1, v169
	v_add_f16_e32 v118, v118, v121
	v_add_f16_e64 v119, v119, v133
	v_add_f16_e64 v120, v182, v120
	v_mul_f16_e64 v169, 0xba62, v169
	v_fma_f16 v192, 0xbbdd, v161, v186
	v_add_f16_e32 v118, v118, v122
	v_add_f16_e64 v119, v119, v135
	v_fma_f16 v193, v161, 0xbbdd, -v186
	v_fma_f16 v194, 0xbacd, v161, v190
	v_fma_f16 v190, v161, 0xbacd, -v190
	v_add_f16_e32 v117, v118, v117
	v_mul_f16_e32 v118, 0x39e9, v31
	v_add_f16_e64 v119, v119, v131
	v_fma_f16 v195, 0xb8d2, v161, v169
	v_fma_f16 v196, v161, 0xb8d2, -v169
	v_add_f16_e32 v115, v117, v115
	v_add_f16_e64 v118, v183, v118
	v_add_f16_e32 v117, v18, v120
	v_fma_f16 v169, 0xb461, v161, v191
	v_fma_f16 v191, v161, 0xb461, -v191
	v_fma_f16 v186, 0x2de8, v161, v189
	v_fma_f16 v189, v161, 0x2de8, -v189
	v_mul_f16_e64 v161, 0x3b76, v161
	v_add_f16_e64 v119, v119, v130
	v_add_f16_e32 v117, v118, v117
	v_mul_f16_e32 v118, 0x3722, v36
	v_mul_f16_e32 v121, 0x39e9, v17
	v_sub_f16_e64 v197, v161, v185
	v_add_f16_e64 v119, v119, v132
	v_add_f16_e32 v114, v115, v114
	v_add_f16_e64 v118, v184, v118
	v_add_f16_e64 v186, v16, v186
	v_add_f16_e64 v185, v16, v169
	v_add_f16_e64 v169, v16, v195
	v_add_f16_e64 v161, v16, v194
	v_add_f16_e64 v192, v16, v192
	v_add_f16_e64 v193, v16, v193
	v_add_f16_e64 v190, v16, v190
	v_add_f16_e64 v194, v16, v196
	v_add_f16_e64 v191, v16, v191
	v_add_f16_e64 v189, v16, v189
	v_add_f16_e64 v187, v16, v187
	v_add_f16_e64 v188, v16, v188
	v_add_f16_e64 v16, v16, v197
	v_sub_f16_e64 v121, v121, v180
	v_mul_f16_e32 v115, 0x3722, v19
	v_add_f16_e32 v117, v118, v117
	v_add_f16_e64 v118, v119, v129
	v_mul_f16_e32 v119, 0x2de8, v95
	v_add_f16_e32 v113, v114, v113
	v_add_f16_e32 v16, v121, v16
	v_sub_f16_e64 v115, v115, v178
	v_mul_f16_e32 v114, 0x2de8, v23
	v_add_f16_e64 v119, v181, v119
	v_add_f16_e32 v112, v113, v112
	v_mul_f16_e32 v113, 0xb461, v99
	v_add_f16_e32 v16, v115, v16
	v_sub_f16_e64 v114, v114, v176
	v_add_f16_e64 v115, v118, v128
	v_add_f16_e32 v117, v119, v117
	v_add_f16_e64 v113, v179, v113
	v_add_f16_e32 v111, v112, v111
	v_add_f16_e32 v16, v114, v16
	;; [unrolled: 1-line block ×3, first 2 shown]
	v_mul_f16_e32 v115, 0xb461, v24
	v_add_f16_e32 v112, v113, v117
	v_mul_f16_e32 v113, 0xb8d2, v102
	v_add_f16_e32 v110, v111, v110
	v_add_f16_e32 v114, v114, v126
	v_sub_f16_e64 v115, v115, v174
	v_mul_f16_e32 v111, 0xb8d2, v27
	v_add_f16_e64 v113, v177, v113
	v_add_f16_e32 v109, v110, v109
	v_mul_f16_e32 v110, 0xbacd, v30
	v_add_f16_e32 v16, v115, v16
	v_sub_f16_e64 v111, v111, v172
	v_add_f16_e32 v112, v113, v112
	v_add_f16_e32 v113, v114, v125
	v_mul_f16_e32 v114, 0xbacd, v104
	v_add_f16_e32 v108, v109, v108
	v_add_f16_e32 v16, v111, v16
	v_sub_f16_e64 v110, v110, v171
	v_mul_f16_e32 v109, 0xbbdd, v105
	v_add_f16_e64 v114, v175, v114
	v_add_f16_e32 v107, v108, v107
	v_mul_f16_e32 v108, 0xbbdd, v32
	v_add_f16_e32 v16, v110, v16
	v_add_f16_e64 v109, v173, v109
	v_add_f16_e32 v112, v114, v112
	v_add_f16_e32 v111, v113, v124
	v_sub_f16_e64 v108, v108, v170
	v_add_f16_e32 v106, v107, v106
	v_mul_f16_e32 v113, 0xbacd, v105
	v_add_f16_e32 v109, v109, v112
	v_add_f16_e32 v110, v111, v123
	;; [unrolled: 1-line block ×3, first 2 shown]
	v_mul_f16_e32 v108, 0xb8d2, v17
	v_mul_f16_e32 v111, 0x2de8, v17
	;; [unrolled: 1-line block ×3, first 2 shown]
	v_add_f16_e32 v110, v110, v116
	v_pack_b32_f16 v107, v16, v109
	v_and_b32_e32 v16, 0xffff, v68
	v_sub_f16_e64 v108, v108, v157
	v_mul_f16_e32 v109, 0xbbdd, v19
	v_pack_b32_f16 v106, v110, v106
	v_mul_f16_e32 v110, 0x39e9, v29
	v_mul_u32_u24_e32 v16, 51, v16
	v_add_f16_e64 v108, v108, v187
	v_sub_f16_e64 v109, v109, v158
	v_sub_f16_e64 v111, v111, v144
	v_add_f16_e64 v110, v153, v110
	v_add_lshl_u32 v16, v16, v67, 2
	v_sub_f16_e64 v112, v112, v143
	v_add_f16_e64 v113, v154, v113
	v_add_f16_e64 v111, v111, v188
	v_add_f16_e32 v110, v18, v110
	ds_store_2addr_b32 v16, v106, v107 offset1:3
	v_mul_f16_e32 v106, 0x3722, v29
	v_mul_f16_e32 v107, 0xb8d2, v31
	v_add_f16_e32 v111, v112, v111
	v_mul_f16_e32 v112, 0xbbdd, v23
	v_mul_f16_e32 v122, 0xbbdd, v31
	v_add_f16_e64 v106, v163, v106
	v_add_f16_e64 v107, v162, v107
	v_mul_f16_e64 v129, 0x3722, v99
	v_sub_f16_e64 v112, v112, v139
	v_fmamk_f16 v123, v28, 0x31e1, v122
	v_add_f16_e32 v106, v18, v106
	v_fmac_f16_e32 v122, 0xb1e1, v28
	v_fma_f16 v130, 0x3b29, v94, v129
	v_add_f16_e32 v111, v112, v111
	v_mul_f16_e32 v112, 0xbacd, v24
	v_add_f16_e32 v106, v107, v106
	v_mul_f16_e32 v107, 0xbbdd, v36
	v_fmac_f16_e64 v129, 0xbb29, v94
	v_mul_f16_e64 v143, 0xbbf7, v33
	v_sub_f16_e64 v112, v112, v140
	v_mul_f16_e64 v154, 0xb461, v31
	v_add_f16_e64 v107, v164, v107
	s_delay_alu instid0(VALU_DEP_4) | instskip(NEXT) | instid1(VALU_DEP_4)
	v_fma_f16 v144, v19, 0x2de8, -v143
	v_add_f16_e32 v111, v112, v111
	v_mul_f16_e32 v112, 0xb461, v27
	s_delay_alu instid0(VALU_DEP_4) | instskip(SKIP_1) | instid1(VALU_DEP_3)
	v_add_f16_e32 v106, v107, v106
	v_mul_f16_e32 v107, 0xb461, v95
	v_sub_f16_e64 v112, v112, v141
	s_delay_alu instid0(VALU_DEP_2) | instskip(NEXT) | instid1(VALU_DEP_1)
	v_add_f16_e64 v107, v165, v107
	v_add_f16_e32 v106, v107, v106
	v_mul_f16_e32 v107, 0x39e9, v99
	s_delay_alu instid0(VALU_DEP_1) | instskip(NEXT) | instid1(VALU_DEP_1)
	v_add_f16_e64 v107, v166, v107
	v_add_f16_e32 v106, v107, v106
	v_mul_f16_e32 v107, 0x3b76, v102
	s_delay_alu instid0(VALU_DEP_1) | instskip(NEXT) | instid1(VALU_DEP_1)
	;; [unrolled: 4-line block ×3, first 2 shown]
	v_add_f16_e64 v107, v168, v107
	v_add_f16_e32 v106, v107, v106
	v_add_f16_e32 v107, v109, v108
	v_mul_f16_e32 v109, 0x2de8, v31
	v_mul_f16_e32 v108, 0xb461, v23
	s_delay_alu instid0(VALU_DEP_4) | instskip(NEXT) | instid1(VALU_DEP_3)
	v_add_f16_e32 v106, v113, v106
	v_add_f16_e64 v109, v151, v109
	s_delay_alu instid0(VALU_DEP_3) | instskip(SKIP_1) | instid1(VALU_DEP_3)
	v_sub_f16_e64 v108, v108, v159
	v_mul_f16_e64 v159, 0x2de8, v99
	v_add_f16_e32 v109, v109, v110
	v_mul_f16_e32 v110, 0xb8d2, v36
	s_delay_alu instid0(VALU_DEP_4) | instskip(SKIP_1) | instid1(VALU_DEP_3)
	v_add_f16_e32 v107, v108, v107
	v_mul_f16_e32 v108, 0x39e9, v24
	v_add_f16_e64 v110, v152, v110
	s_delay_alu instid0(VALU_DEP_2) | instskip(SKIP_2) | instid1(VALU_DEP_4)
	v_sub_f16_e64 v108, v108, v160
	v_fma_f16 v160, 0xbbf7, v94, v159
	v_fmac_f16_e64 v159, 0x3bf7, v94
	v_add_f16_e32 v109, v110, v109
	v_mul_f16_e32 v110, 0xbbdd, v95
	v_add_f16_e32 v107, v108, v107
	v_mul_f16_e32 v108, 0x3b76, v27
	s_delay_alu instid0(VALU_DEP_3) | instskip(NEXT) | instid1(VALU_DEP_2)
	v_add_f16_e64 v110, v150, v110
	v_sub_f16_e64 v108, v108, v156
	s_delay_alu instid0(VALU_DEP_2) | instskip(SKIP_1) | instid1(VALU_DEP_3)
	v_add_f16_e32 v109, v110, v109
	v_mul_f16_e32 v110, 0xbacd, v99
	v_add_f16_e32 v107, v108, v107
	v_mul_f16_e32 v108, 0x2de8, v30
	s_delay_alu instid0(VALU_DEP_3) | instskip(NEXT) | instid1(VALU_DEP_2)
	v_add_f16_e64 v110, v147, v110
	v_sub_f16_e64 v108, v108, v155
	v_fma_f16 v155, 0xbbb2, v28, v154
	v_fmac_f16_e64 v154, 0x3bb2, v28
	s_delay_alu instid0(VALU_DEP_4) | instskip(SKIP_2) | instid1(VALU_DEP_2)
	v_add_f16_e32 v109, v110, v109
	v_mul_f16_e32 v110, 0xb461, v102
	v_add_f16_e32 v107, v108, v107
	v_add_f16_e64 v110, v148, v110
	s_delay_alu instid0(VALU_DEP_1) | instskip(SKIP_1) | instid1(VALU_DEP_1)
	v_add_f16_e32 v109, v110, v109
	v_mul_f16_e32 v110, 0x3722, v104
	v_add_f16_e64 v110, v149, v110
	s_delay_alu instid0(VALU_DEP_1) | instskip(SKIP_4) | instid1(VALU_DEP_4)
	v_add_f16_e32 v108, v110, v109
	v_mul_f16_e32 v110, 0x3722, v30
	v_add_f16_e32 v109, v112, v111
	v_mul_f16_e32 v111, 0x3b76, v105
	v_mul_f16_e32 v112, 0xbacd, v32
	v_sub_f16_e64 v110, v110, v138
	s_delay_alu instid0(VALU_DEP_3) | instskip(NEXT) | instid1(VALU_DEP_3)
	v_add_f16_e64 v111, v146, v111
	v_sub_f16_e64 v112, v112, v145
	s_delay_alu instid0(VALU_DEP_3) | instskip(SKIP_1) | instid1(VALU_DEP_4)
	v_add_f16_e32 v109, v110, v109
	v_mul_f16_e32 v110, 0x3b76, v32
	v_add_f16_e32 v108, v111, v108
	s_delay_alu instid0(VALU_DEP_4) | instskip(SKIP_1) | instid1(VALU_DEP_4)
	v_add_f16_e32 v107, v112, v107
	v_mul_f16_e32 v112, 0x3722, v95
	v_sub_f16_e64 v110, v110, v142
	s_delay_alu instid0(VALU_DEP_3) | instskip(NEXT) | instid1(VALU_DEP_3)
	v_pack_b32_f16 v106, v107, v106
	v_fmamk_f16 v113, v37, 0x3b29, v112
	v_fmac_f16_e32 v112, 0xbb29, v37
	s_delay_alu instid0(VALU_DEP_4) | instskip(NEXT) | instid1(VALU_DEP_1)
	v_add_f16_e32 v109, v110, v109
	v_pack_b32_f16 v108, v109, v108
	ds_store_2addr_b32 v16, v108, v106 offset0:6 offset1:9
	v_mul_f16_e32 v106, 0xb461, v29
	v_mul_f16_e32 v108, 0xbacd, v31
	s_delay_alu instid0(VALU_DEP_2) | instskip(SKIP_1) | instid1(VALU_DEP_3)
	v_fmamk_f16 v107, v25, 0x3bb2, v106
	v_fmac_f16_e32 v106, 0xbbb2, v25
	v_fmamk_f16 v109, v28, 0xb836, v108
	v_fmac_f16_e32 v108, 0x3836, v28
	s_delay_alu instid0(VALU_DEP_3) | instskip(NEXT) | instid1(VALU_DEP_1)
	v_add_f16_e32 v106, v18, v106
	v_add_f16_e32 v106, v108, v106
	v_mul_f16_e32 v108, 0x39e9, v36
	s_delay_alu instid0(VALU_DEP_1) | instskip(SKIP_1) | instid1(VALU_DEP_1)
	v_fmamk_f16 v110, v34, 0xb964, v108
	v_fmac_f16_e32 v108, 0x3964, v34
	v_add_f16_e32 v106, v108, v106
	v_mul_f16_e32 v108, 0x3836, v26
	s_delay_alu instid0(VALU_DEP_2) | instskip(NEXT) | instid1(VALU_DEP_2)
	v_add_f16_e32 v106, v112, v106
	v_fma_f16 v111, v17, 0xbacd, -v108
	v_mul_f16_e32 v112, 0x3964, v33
	s_delay_alu instid0(VALU_DEP_2) | instskip(NEXT) | instid1(VALU_DEP_2)
	v_add_f16_e64 v111, v111, v191
	v_fma_f16 v114, v19, 0x39e9, -v112
	s_delay_alu instid0(VALU_DEP_1) | instskip(SKIP_1) | instid1(VALU_DEP_1)
	v_add_f16_e32 v111, v114, v111
	v_mul_f16_e32 v114, 0xbbdd, v99
	v_fmamk_f16 v115, v94, 0x31e1, v114
	v_fmac_f16_e32 v114, 0xb1e1, v94
	s_delay_alu instid0(VALU_DEP_1) | instskip(SKIP_1) | instid1(VALU_DEP_1)
	v_add_f16_e32 v106, v114, v106
	v_mul_f16_e32 v114, 0xbb29, v35
	v_fma_f16 v116, v23, 0x3722, -v114
	s_delay_alu instid0(VALU_DEP_1) | instskip(SKIP_1) | instid1(VALU_DEP_1)
	v_add_f16_e32 v111, v116, v111
	v_mul_f16_e32 v116, 0x2de8, v102
	v_fmamk_f16 v117, v98, 0xbbf7, v116
	v_fmac_f16_e32 v116, 0x3bf7, v98
	s_delay_alu instid0(VALU_DEP_1) | instskip(SKIP_1) | instid1(VALU_DEP_1)
	v_add_f16_e32 v106, v116, v106
	v_mul_f16_e32 v116, 0xb1e1, v38
	;; [unrolled: 9-line block ×3, first 2 shown]
	v_fma_f16 v120, v27, 0x2de8, -v118
	s_delay_alu instid0(VALU_DEP_1) | instskip(SKIP_1) | instid1(VALU_DEP_1)
	v_add_f16_e32 v111, v120, v111
	v_mul_f16_e32 v120, 0x2de8, v29
	v_fmamk_f16 v121, v25, 0x3bf7, v120
	v_fmac_f16_e32 v120, 0xbbf7, v25
	s_delay_alu instid0(VALU_DEP_1) | instskip(NEXT) | instid1(VALU_DEP_1)
	v_add_f16_e32 v120, v18, v120
	v_add_f16_e32 v120, v122, v120
	v_mul_f16_e32 v122, 0xb8d2, v105
	s_delay_alu instid0(VALU_DEP_1) | instskip(SKIP_1) | instid1(VALU_DEP_1)
	v_fmamk_f16 v124, v103, 0x3a62, v122
	v_fmac_f16_e32 v122, 0xba62, v103
	v_add_f16_e32 v106, v122, v106
	v_mul_f16_e32 v122, 0xb5c8, v100
	s_delay_alu instid0(VALU_DEP_1) | instskip(NEXT) | instid1(VALU_DEP_1)
	v_fma_f16 v125, v30, 0x3b76, -v122
	v_add_f16_e32 v111, v125, v111
	v_mul_f16_e32 v125, 0xb461, v36
	s_delay_alu instid0(VALU_DEP_1) | instskip(SKIP_1) | instid1(VALU_DEP_1)
	v_fmamk_f16 v126, v34, 0xbbb2, v125
	v_fmac_f16_e32 v125, 0x3bb2, v34
	v_add_f16_e32 v120, v125, v120
	v_mul_f16_e32 v125, 0x3b76, v95
	s_delay_alu instid0(VALU_DEP_1) | instskip(SKIP_1) | instid1(VALU_DEP_1)
	v_fmamk_f16 v127, v37, 0xb5c8, v125
	v_fmac_f16_e32 v125, 0x35c8, v37
	v_add_f16_e32 v120, v125, v120
	v_mul_f16_e32 v125, 0xb1e1, v26
	s_delay_alu instid0(VALU_DEP_2) | instskip(NEXT) | instid1(VALU_DEP_2)
	v_add_f16_e64 v120, v129, v120
	v_fma_f16 v128, v17, 0xbbdd, -v125
	v_mul_f16_e64 v129, 0x3bb2, v33
	s_delay_alu instid0(VALU_DEP_2) | instskip(NEXT) | instid1(VALU_DEP_2)
	v_add_f16_e64 v128, v128, v189
	v_fma_f16 v131, v19, 0xb461, -v129
	s_delay_alu instid0(VALU_DEP_1) | instskip(SKIP_1) | instid1(VALU_DEP_1)
	v_add_f16_e64 v128, v131, v128
	v_mul_f16_e64 v131, 0xbacd, v102
	v_fma_f16 v132, 0x3836, v98, v131
	v_fmac_f16_e64 v131, 0xb836, v98
	s_delay_alu instid0(VALU_DEP_1) | instskip(SKIP_1) | instid1(VALU_DEP_1)
	v_add_f16_e64 v120, v131, v120
	v_mul_f16_e64 v131, 0x35c8, v35
	v_fma_f16 v133, v23, 0x3b76, -v131
	s_delay_alu instid0(VALU_DEP_1) | instskip(SKIP_1) | instid1(VALU_DEP_1)
	v_add_f16_e64 v128, v133, v128
	v_mul_f16_e64 v133, 0xb8d2, v104
	v_fma_f16 v134, 0xba62, v101, v133
	v_fmac_f16_e64 v133, 0x3a62, v101
	s_delay_alu instid0(VALU_DEP_1) | instskip(SKIP_1) | instid1(VALU_DEP_1)
	v_add_f16_e64 v120, v133, v120
	v_mul_f16_e64 v133, 0xbb29, v38
	v_fma_f16 v135, v24, 0x3722, -v133
	s_delay_alu instid0(VALU_DEP_1) | instskip(SKIP_1) | instid1(VALU_DEP_1)
	v_add_f16_e64 v128, v135, v128
	v_mul_f16_e64 v135, 0xb836, v96
	v_fma_f16 v136, v27, 0xbacd, -v135
	;; [unrolled: 4-line block ×3, first 2 shown]
	s_delay_alu instid0(VALU_DEP_1) | instskip(SKIP_1) | instid1(VALU_DEP_1)
	v_add_f16_e64 v128, v137, v128
	v_mul_f16_e64 v137, 0x39e9, v105
	v_fma_f16 v138, 0xb964, v103, v137
	v_fmac_f16_e64 v137, 0x3964, v103
	s_delay_alu instid0(VALU_DEP_1) | instskip(SKIP_1) | instid1(VALU_DEP_1)
	v_add_f16_e64 v120, v137, v120
	v_mul_f16_e64 v137, 0x3964, v97
	v_fma_f16 v139, v32, 0x39e9, -v137
	s_delay_alu instid0(VALU_DEP_1) | instskip(SKIP_1) | instid1(VALU_DEP_2)
	v_add_f16_e64 v128, v139, v128
	v_mul_f16_e64 v139, 0xba62, v97
	v_pack_b32_f16 v120, v128, v120
	s_delay_alu instid0(VALU_DEP_2) | instskip(NEXT) | instid1(VALU_DEP_1)
	v_fma_f16 v140, v32, 0xb8d2, -v139
	v_add_f16_e64 v111, v140, v111
	s_delay_alu instid0(VALU_DEP_1) | instskip(SKIP_4) | instid1(VALU_DEP_3)
	v_pack_b32_f16 v106, v111, v106
	ds_store_2addr_b32 v16, v120, v106 offset0:12 offset1:15
	v_mul_f16_e32 v106, 0xbacd, v29
	v_mul_f16_e32 v120, 0x3722, v31
	v_mul_f16_e32 v31, 0x3b76, v31
	v_fmamk_f16 v111, v25, 0x3836, v106
	v_fmac_f16_e32 v106, 0xb836, v25
	s_delay_alu instid0(VALU_DEP_4) | instskip(SKIP_1) | instid1(VALU_DEP_3)
	v_fma_f16 v128, 0xbb29, v28, v120
	v_fmac_f16_e32 v120, 0x3b29, v28
	v_add_f16_e32 v106, v18, v106
	s_delay_alu instid0(VALU_DEP_1) | instskip(SKIP_1) | instid1(VALU_DEP_1)
	v_add_f16_e32 v106, v120, v106
	v_mul_f16_e32 v120, 0x2de8, v36
	v_fma_f16 v140, 0x3bf7, v34, v120
	v_fmac_f16_e32 v120, 0xbbf7, v34
	s_delay_alu instid0(VALU_DEP_1) | instskip(SKIP_1) | instid1(VALU_DEP_1)
	v_add_f16_e32 v106, v120, v106
	v_mul_f16_e32 v120, 0xb8d2, v95
	v_fma_f16 v141, 0xba62, v37, v120
	v_fmac_f16_e32 v120, 0x3a62, v37
	s_delay_alu instid0(VALU_DEP_1) | instskip(SKIP_1) | instid1(VALU_DEP_1)
	v_add_f16_e32 v106, v120, v106
	v_mul_f16_e32 v120, 0x3b29, v26
	v_fma_f16 v142, v17, 0x3722, -v120
	s_delay_alu instid0(VALU_DEP_1) | instskip(NEXT) | instid1(VALU_DEP_1)
	v_add_f16_e64 v142, v142, v190
	v_add_f16_e64 v142, v144, v142
	v_mul_f16_e64 v144, 0x3b76, v99
	v_mul_f16_e32 v99, 0xb8d2, v99
	s_delay_alu instid0(VALU_DEP_2) | instskip(SKIP_1) | instid1(VALU_DEP_1)
	v_fma_f16 v145, 0x35c8, v94, v144
	v_fmac_f16_e64 v144, 0xb5c8, v94
	v_add_f16_e64 v106, v144, v106
	v_mul_f16_e64 v144, 0x3a62, v35
	s_delay_alu instid0(VALU_DEP_1) | instskip(NEXT) | instid1(VALU_DEP_1)
	v_fma_f16 v146, v23, 0xb8d2, -v144
	v_add_f16_e64 v142, v146, v142
	v_mul_f16_e64 v146, 0xbbdd, v102
	s_delay_alu instid0(VALU_DEP_1) | instskip(SKIP_1) | instid1(VALU_DEP_1)
	v_fma_f16 v147, 0x31e1, v98, v146
	v_fmac_f16_e64 v146, 0xb1e1, v98
	v_add_f16_e64 v106, v146, v106
	v_mul_f16_e64 v146, 0xb5c8, v38
	s_delay_alu instid0(VALU_DEP_1) | instskip(NEXT) | instid1(VALU_DEP_1)
	v_fma_f16 v148, v24, 0x3b76, -v146
	v_add_f16_e64 v142, v148, v142
	v_mul_f16_e64 v148, 0x39e9, v104
	s_delay_alu instid0(VALU_DEP_1) | instskip(SKIP_1) | instid1(VALU_DEP_1)
	;; [unrolled: 9-line block ×3, first 2 shown]
	v_fma_f16 v151, 0x3bb2, v103, v150
	v_fmac_f16_e64 v150, 0xbbb2, v103
	v_add_f16_e64 v106, v150, v106
	v_mul_f16_e64 v150, 0x3964, v100
	s_delay_alu instid0(VALU_DEP_1) | instskip(NEXT) | instid1(VALU_DEP_1)
	v_fma_f16 v152, v30, 0x39e9, -v150
	v_add_f16_e64 v142, v152, v142
	v_mul_f16_e64 v152, 0xb8d2, v29
	v_mul_f16_e32 v29, 0xbbdd, v29
	s_delay_alu instid0(VALU_DEP_2) | instskip(SKIP_1) | instid1(VALU_DEP_1)
	v_fma_f16 v153, 0x3a62, v25, v152
	v_fmac_f16_e64 v152, 0xba62, v25
	v_add_f16_e64 v152, v18, v152
	s_delay_alu instid0(VALU_DEP_1) | instskip(SKIP_2) | instid1(VALU_DEP_2)
	v_add_f16_e64 v152, v154, v152
	v_mul_f16_e64 v154, 0x3b76, v36
	v_mul_f16_e32 v36, 0xbacd, v36
	v_fma_f16 v156, 0x35c8, v34, v154
	v_fmac_f16_e64 v154, 0xb5c8, v34
	s_delay_alu instid0(VALU_DEP_1) | instskip(SKIP_2) | instid1(VALU_DEP_2)
	v_add_f16_e64 v152, v154, v152
	v_mul_f16_e64 v154, 0xbacd, v95
	v_mul_f16_e32 v95, 0x39e9, v95
	v_fma_f16 v157, 0x3836, v37, v154
	v_fmac_f16_e64 v154, 0xb836, v37
	s_delay_alu instid0(VALU_DEP_1) | instskip(SKIP_2) | instid1(VALU_DEP_3)
	v_add_f16_e64 v152, v154, v152
	v_mul_f16_e64 v154, 0x3bb2, v26
	v_mul_f16_e32 v26, 0x35c8, v26
	v_add_f16_e64 v152, v159, v152
	s_delay_alu instid0(VALU_DEP_3) | instskip(SKIP_1) | instid1(VALU_DEP_2)
	v_fma_f16 v158, v17, 0xb461, -v154
	v_mul_f16_e64 v159, 0xb5c8, v33
	v_add_f16_e64 v158, v158, v194
	s_delay_alu instid0(VALU_DEP_2) | instskip(NEXT) | instid1(VALU_DEP_1)
	v_fma_f16 v162, v19, 0x3b76, -v159
	v_add_f16_e64 v158, v162, v158
	v_mul_f16_e64 v162, 0x39e9, v102
	v_mul_f16_e32 v102, 0x3722, v102
	s_delay_alu instid0(VALU_DEP_2) | instskip(SKIP_1) | instid1(VALU_DEP_1)
	v_fma_f16 v163, 0x3964, v98, v162
	v_fmac_f16_e64 v162, 0xb964, v98
	v_add_f16_e64 v152, v162, v152
	v_mul_f16_e64 v162, 0xb836, v35
	s_delay_alu instid0(VALU_DEP_1) | instskip(NEXT) | instid1(VALU_DEP_1)
	v_fma_f16 v164, v23, 0xbacd, -v162
	v_add_f16_e64 v158, v164, v158
	v_mul_f16_e64 v164, 0xbbdd, v104
	v_mul_f16_e32 v104, 0xb461, v104
	s_delay_alu instid0(VALU_DEP_2) | instskip(SKIP_1) | instid1(VALU_DEP_1)
	v_fma_f16 v165, 0x31e1, v101, v164
	v_fmac_f16_e64 v164, 0xb1e1, v101
	v_add_f16_e64 v152, v164, v152
	v_mul_f16_e64 v164, 0x3bf7, v38
	s_delay_alu instid0(VALU_DEP_1) | instskip(NEXT) | instid1(VALU_DEP_1)
	v_fma_f16 v166, v24, 0x2de8, -v164
	v_add_f16_e64 v158, v166, v158
	v_mul_f16_e64 v166, 0x3722, v105
	s_delay_alu instid0(VALU_DEP_1) | instskip(SKIP_1) | instid1(VALU_DEP_1)
	v_fma_f16 v167, 0xbb29, v103, v166
	v_fmac_f16_e64 v166, 0x3b29, v103
	v_add_f16_e64 v152, v166, v152
	v_mul_f16_e64 v166, 0xb964, v96
	s_delay_alu instid0(VALU_DEP_1) | instskip(NEXT) | instid1(VALU_DEP_1)
	v_fma_f16 v168, v27, 0x39e9, -v166
	v_add_f16_e64 v158, v168, v158
	v_mul_f16_e64 v168, 0xb1e1, v100
	s_delay_alu instid0(VALU_DEP_1) | instskip(NEXT) | instid1(VALU_DEP_1)
	v_fma_f16 v170, v30, 0xbbdd, -v168
	;; [unrolled: 4-line block ×3, first 2 shown]
	v_add_f16_e64 v158, v171, v158
	v_mul_f16_e64 v171, 0xbbb2, v97
	s_delay_alu instid0(VALU_DEP_2) | instskip(NEXT) | instid1(VALU_DEP_2)
	v_pack_b32_f16 v152, v158, v152
	v_fma_f16 v172, v32, 0xb461, -v171
	s_delay_alu instid0(VALU_DEP_1) | instskip(NEXT) | instid1(VALU_DEP_1)
	v_add_f16_e64 v142, v172, v142
	v_pack_b32_f16 v106, v142, v106
	v_fma_f16 v142, 0xb5c8, v28, v31
	v_fmac_f16_e32 v31, 0x35c8, v28
	ds_store_2addr_b32 v16, v152, v106 offset0:18 offset1:21
	v_fmamk_f16 v106, v25, 0x31e1, v29
	v_fmac_f16_e32 v29, 0xb1e1, v25
	v_mul_f16_e32 v25, 0x2de8, v105
	s_delay_alu instid0(VALU_DEP_3) | instskip(NEXT) | instid1(VALU_DEP_3)
	v_add_f16_e32 v106, v18, v106
	v_add_f16_e32 v28, v18, v29
	v_fmamk_f16 v29, v17, 0x3b76, v26
	s_delay_alu instid0(VALU_DEP_4)
	v_fmamk_f16 v105, v103, 0xbbf7, v25
	v_fmac_f16_e32 v25, 0x3bf7, v103
	v_add_f16_e64 v106, v142, v106
	v_fma_f16 v142, 0x3836, v34, v36
	v_add_f16_e32 v28, v31, v28
	v_fmac_f16_e32 v36, 0xb836, v34
	v_mul_f16_e32 v31, 0xb836, v33
	v_add_f16_e64 v29, v29, v192
	v_add_f16_e64 v106, v142, v106
	v_fma_f16 v142, 0xb964, v37, v95
	v_add_f16_e32 v28, v36, v28
	v_fmac_f16_e32 v95, 0x3964, v37
	v_fmamk_f16 v33, v19, 0xbacd, v31
	v_fma_f16 v26, v17, 0x3b76, -v26
	v_add_f16_e64 v106, v142, v106
	v_fma_f16 v142, 0x3a62, v94, v99
	v_add_f16_e32 v28, v95, v28
	v_fmac_f16_e32 v99, 0xba62, v94
	v_add_f16_e32 v29, v33, v29
	v_mul_f16_e32 v33, 0x3964, v35
	v_add_f16_e64 v106, v142, v106
	v_fma_f16 v142, 0xbb29, v98, v102
	v_add_f16_e32 v28, v99, v28
	v_fmac_f16_e32 v102, 0x3b29, v98
	v_fmamk_f16 v34, v23, 0x39e9, v33
	v_add_f16_e64 v26, v26, v193
	v_add_f16_e64 v106, v142, v106
	v_fma_f16 v142, 0x3bb2, v101, v104
	v_add_f16_e32 v28, v102, v28
	v_fmac_f16_e32 v104, 0xbbb2, v101
	v_add_f16_e32 v29, v34, v29
	v_mul_f16_e32 v34, 0xba62, v38
	v_add_f16_e64 v106, v142, v106
	s_delay_alu instid0(VALU_DEP_4) | instskip(NEXT) | instid1(VALU_DEP_3)
	v_add_f16_e32 v28, v104, v28
	v_fmamk_f16 v35, v24, 0xb8d2, v34
	s_delay_alu instid0(VALU_DEP_3) | instskip(NEXT) | instid1(VALU_DEP_3)
	v_add_f16_e32 v105, v105, v106
	v_add_f16_e32 v25, v25, v28
	v_fma_f16 v28, v19, 0xbacd, -v31
	s_delay_alu instid0(VALU_DEP_4) | instskip(SKIP_1) | instid1(VALU_DEP_3)
	v_add_f16_e32 v29, v35, v29
	v_mul_f16_e32 v35, 0x3b29, v96
	v_add_f16_e32 v26, v28, v26
	v_fma_f16 v28, v23, 0x39e9, -v33
	s_delay_alu instid0(VALU_DEP_3) | instskip(NEXT) | instid1(VALU_DEP_2)
	v_fmamk_f16 v36, v27, 0x3722, v35
	v_add_f16_e32 v26, v28, v26
	v_fma_f16 v28, v24, 0xb8d2, -v34
	s_delay_alu instid0(VALU_DEP_3) | instskip(SKIP_2) | instid1(VALU_DEP_4)
	v_add_f16_e32 v29, v36, v29
	v_mul_f16_e32 v36, 0xbbb2, v100
	v_fmamk_f16 v34, v17, 0xbacd, v108
	v_add_f16_e32 v26, v28, v26
	v_fma_f16 v28, v27, 0x3722, -v35
	s_delay_alu instid0(VALU_DEP_4)
	v_fma_f16 v31, v30, 0xb461, -v36
	v_fmamk_f16 v37, v30, 0xb461, v36
	v_fma_f16 v35, 0xb461, v17, v154
	v_add_f16_e64 v34, v34, v185
	v_add_f16_e32 v26, v28, v26
	v_add_f16_e32 v28, v18, v121
	;; [unrolled: 1-line block ×3, first 2 shown]
	v_add_f16_e64 v35, v35, v169
	v_fmamk_f16 v36, v19, 0x39e9, v112
	v_add_f16_e32 v26, v31, v26
	v_add_f16_e32 v28, v123, v28
	v_mul_f16_e32 v31, 0x3bf7, v97
	v_fma_f16 v37, 0x3b76, v19, v159
	v_add_f16_e32 v34, v36, v34
	v_fma_f16 v36, 0xbacd, v23, v162
	v_add_f16_e32 v28, v126, v28
	v_fma_f16 v33, v32, 0x2de8, -v31
	v_fmamk_f16 v31, v32, 0x2de8, v31
	v_add_f16_e32 v35, v37, v35
	s_delay_alu instid0(VALU_DEP_4) | instskip(NEXT) | instid1(VALU_DEP_4)
	v_add_f16_e32 v28, v127, v28
	v_add_f16_e32 v26, v33, v26
	v_fma_f16 v33, 0xb461, v19, v129
	v_add_f16_e32 v29, v31, v29
	v_add_f16_e32 v31, v18, v107
	v_fma_f16 v19, 0x2de8, v19, v143
	v_pack_b32_f16 v25, v26, v25
	v_add_f16_e64 v26, v130, v28
	v_fmamk_f16 v28, v17, 0xbbdd, v125
	v_fmamk_f16 v17, v17, 0x3722, v120
	v_add_f16_e32 v31, v109, v31
	s_delay_alu instid0(VALU_DEP_4) | instskip(NEXT) | instid1(VALU_DEP_4)
	v_add_f16_e64 v26, v132, v26
	v_add_f16_e64 v28, v28, v186
	s_delay_alu instid0(VALU_DEP_4) | instskip(NEXT) | instid1(VALU_DEP_4)
	v_add_f16_e64 v17, v17, v161
	v_add_f16_e32 v31, v110, v31
	s_delay_alu instid0(VALU_DEP_4) | instskip(NEXT) | instid1(VALU_DEP_4)
	v_add_f16_e64 v26, v134, v26
	v_add_f16_e32 v28, v33, v28
	v_fma_f16 v33, 0x3b76, v23, v131
	v_add_f16_e32 v17, v19, v17
	v_fmamk_f16 v19, v23, 0x3722, v114
	v_fma_f16 v23, 0xb8d2, v23, v144
	v_add_f16_e32 v31, v113, v31
	v_add_f16_e32 v28, v33, v28
	v_fma_f16 v33, 0x3722, v24, v133
	v_add_f16_e32 v19, v19, v34
	v_add_f16_e32 v34, v36, v35
	;; [unrolled: 1-line block ×3, first 2 shown]
	v_fmamk_f16 v23, v24, 0xbbdd, v116
	v_add_f16_e32 v28, v33, v28
	v_fma_f16 v33, 0xbacd, v27, v135
	v_fma_f16 v35, 0x2de8, v24, v164
	;; [unrolled: 1-line block ×3, first 2 shown]
	v_add_f16_e32 v19, v23, v19
	v_add_f16_e32 v31, v115, v31
	;; [unrolled: 1-line block ×3, first 2 shown]
	v_fma_f16 v33, 0xb8d2, v30, v136
	v_add_f16_e32 v17, v24, v17
	v_fmamk_f16 v24, v27, 0x2de8, v118
	v_add_f16_e32 v31, v117, v31
	v_add_f16_e64 v26, v138, v26
	v_add_f16_e32 v28, v33, v28
	v_add_f16_e64 v33, v18, v153
	v_add_f16_e32 v18, v18, v111
	v_add_f16_e32 v19, v24, v19
	;; [unrolled: 1-line block ×3, first 2 shown]
	s_delay_alu instid0(VALU_DEP_4) | instskip(NEXT) | instid1(VALU_DEP_4)
	v_add_f16_e64 v33, v155, v33
	v_add_f16_e64 v18, v128, v18
	s_delay_alu instid0(VALU_DEP_2) | instskip(NEXT) | instid1(VALU_DEP_2)
	v_add_f16_e64 v33, v156, v33
	v_add_f16_e64 v18, v140, v18
	s_delay_alu instid0(VALU_DEP_2) | instskip(NEXT) | instid1(VALU_DEP_2)
	v_add_f16_e64 v33, v157, v33
	v_add_f16_e64 v18, v141, v18
	s_delay_alu instid0(VALU_DEP_2) | instskip(SKIP_1) | instid1(VALU_DEP_3)
	v_add_f16_e64 v23, v160, v33
	v_add_f16_e32 v33, v35, v34
	v_add_f16_e64 v18, v145, v18
	v_fma_f16 v34, 0x39e9, v27, v166
	v_fma_f16 v27, 0xbbdd, v27, v148
	v_add_f16_e64 v23, v163, v23
	s_delay_alu instid0(VALU_DEP_4) | instskip(NEXT) | instid1(VALU_DEP_4)
	v_add_f16_e64 v18, v147, v18
	v_add_f16_e32 v24, v34, v33
	s_delay_alu instid0(VALU_DEP_4)
	v_add_f16_e32 v17, v27, v17
	v_fmamk_f16 v27, v30, 0x3b76, v122
	v_fma_f16 v33, 0xbbdd, v30, v168
	v_fma_f16 v30, 0x39e9, v30, v150
	v_add_f16_e64 v23, v165, v23
	v_add_f16_e64 v18, v149, v18
	v_add_f16_e32 v19, v27, v19
	v_add_f16_e32 v24, v33, v24
	;; [unrolled: 1-line block ×3, first 2 shown]
	v_fma_f16 v30, 0xb461, v32, v171
	v_fma_f16 v33, 0x3722, v32, v170
	;; [unrolled: 1-line block ×4, first 2 shown]
	v_add_f16_e64 v23, v167, v23
	v_add_f16_e64 v18, v151, v18
	v_add_f16_e32 v17, v30, v17
	v_add_f16_e32 v24, v33, v24
	;; [unrolled: 1-line block ×5, first 2 shown]
	v_pack_b32_f16 v28, v29, v105
	v_pack_b32_f16 v17, v17, v18
	v_pack_b32_f16 v18, v24, v23
	v_pack_b32_f16 v19, v19, v30
	v_pack_b32_f16 v23, v27, v26
	v_perm_b32 v24, v93, v92, 0x5040100
	v_perm_b32 v26, v89, v91, 0x5040100
	;; [unrolled: 1-line block ×3, first 2 shown]
	ds_store_2addr_b32 v16, v25, v28 offset0:24 offset1:27
	ds_store_2addr_b32 v16, v17, v18 offset0:30 offset1:33
	;; [unrolled: 1-line block ×4, first 2 shown]
	ds_store_b32 v16, v27 offset:192
.LBB0_11:
	s_wait_alu 0xfffe
	s_or_b32 exec_lo, exec_lo, s1
	v_mad_co_u64_u32 v[26:27], null, v59, 24, s[2:3]
	global_wb scope:SCOPE_SE
	s_wait_dscnt 0x0
	s_barrier_signal -1
	s_barrier_wait -1
	global_inv scope:SCOPE_SE
	v_add_nc_u32_e32 v29, 0x400, v41
	v_add_nc_u32_e32 v25, 0x600, v41
	s_clause 0x1
	global_load_b128 v[16:19], v[26:27], off offset:192
	global_load_b64 v[23:24], v[26:27], off offset:208
	v_add_nc_u32_e32 v30, 0x800, v41
	ds_load_2addr_b32 v[31:32], v41 offset1:51
	ds_load_2addr_b32 v[33:34], v41 offset0:102 offset1:153
	ds_load_2addr_b32 v[35:36], v41 offset0:204 offset1:255
	;; [unrolled: 1-line block ×6, first 2 shown]
	v_mul_i32_i24_e32 v100, 0xffffffec, v59
	v_mul_hi_i32_i24_e32 v28, 0xffffffec, v59
	global_wb scope:SCOPE_SE
	s_wait_loadcnt_dscnt 0x0
	s_barrier_signal -1
	s_barrier_wait -1
	v_add_co_u32 v26, s1, v26, v100
	s_wait_alu 0xf1ff
	v_add_co_ci_u32_e64 v27, s1, v27, v28, s1
	global_inv scope:SCOPE_SE
	s_add_nc_u64 s[2:3], s[12:13], 0xb28
	v_lshrrev_b32_e32 v111, 16, v37
	v_lshrrev_b32_e32 v100, 16, v33
	v_lshrrev_b32_e32 v103, 16, v35
	v_lshrrev_b32_e32 v113, 16, v96
	v_lshrrev_b32_e32 v114, 16, v98
	v_lshrrev_b32_e32 v107, 16, v34
	v_lshrrev_b32_e32 v109, 16, v36
	v_lshrrev_b32_e32 v112, 16, v94
	v_lshrrev_b32_e32 v117, 16, v97
	v_lshrrev_b32_e32 v118, 16, v99
	v_lshrrev_b32_e32 v115, 16, v38
	v_lshrrev_b32_e32 v116, 16, v95
	v_lshrrev_b32_e32 v28, 16, v31
	v_lshrrev_b32_e32 v105, 16, v32
	v_lshrrev_b32_e32 v110, 16, v16
	v_lshrrev_b32_e32 v108, 16, v17
	v_lshrrev_b32_e32 v102, 16, v23
	v_lshrrev_b32_e32 v101, 16, v24
	v_lshrrev_b32_e32 v106, 16, v18
	v_lshrrev_b32_e32 v104, 16, v19
	v_mul_f16_e32 v119, v100, v110
	v_mul_f16_e32 v120, v33, v110
	;; [unrolled: 1-line block ×5, first 2 shown]
	v_mul_f16_e64 v128, v96, v102
	v_mul_f16_e64 v129, v114, v101
	;; [unrolled: 1-line block ×3, first 2 shown]
	v_mul_f16_e32 v123, v111, v106
	v_mul_f16_e32 v124, v37, v106
	;; [unrolled: 1-line block ×4, first 2 shown]
	v_mul_f16_e64 v131, v107, v110
	v_mul_f16_e64 v132, v34, v110
	;; [unrolled: 1-line block ×10, first 2 shown]
	v_fma_f16 v33, v33, v16, -v119
	v_fmac_f16_e32 v120, v100, v16
	v_fma_f16 v35, v35, v17, -v121
	v_fmac_f16_e32 v122, v103, v17
	v_fma_f16 v96, v96, v23, -v127
	v_fmac_f16_e64 v128, v113, v23
	v_fma_f16 v98, v98, v24, -v129
	v_fmac_f16_e64 v130, v114, v24
	v_mul_f16_e64 v136, v38, v106
	v_mul_f16_e64 v138, v95, v104
	v_fma_f16 v37, v37, v18, -v123
	v_fmac_f16_e32 v124, v111, v18
	v_fma_f16 v94, v94, v19, -v125
	v_fmac_f16_e32 v126, v112, v19
	v_fma_f16 v34, v34, v16, -v131
	v_fmac_f16_e64 v132, v107, v16
	v_fma_f16 v36, v36, v17, -v133
	v_fmac_f16_e64 v134, v109, v17
	v_fma_f16 v97, v97, v23, -v139
	v_fmac_f16_e64 v140, v117, v23
	v_fma_f16 v99, v99, v24, -v141
	v_fmac_f16_e64 v142, v118, v24
	v_fma_f16 v38, v38, v18, -v135
	v_fma_f16 v95, v95, v19, -v137
	v_add_f16_e32 v100, v33, v98
	v_add_f16_e64 v103, v120, v130
	v_add_f16_e32 v107, v35, v96
	v_add_f16_e64 v109, v122, v128
	v_fmac_f16_e64 v136, v115, v18
	v_fmac_f16_e64 v138, v116, v19
	v_sub_f16_e32 v33, v33, v98
	v_sub_f16_e64 v98, v120, v130
	v_sub_f16_e32 v35, v35, v96
	v_sub_f16_e64 v96, v122, v128
	v_add_f16_e32 v111, v37, v94
	v_add_f16_e32 v112, v124, v126
	v_sub_f16_e32 v37, v94, v37
	v_sub_f16_e32 v94, v126, v124
	v_add_f16_e32 v113, v34, v99
	v_add_f16_e64 v114, v132, v142
	v_add_f16_e32 v115, v36, v97
	v_add_f16_e64 v116, v134, v140
	v_sub_f16_e32 v34, v34, v99
	v_sub_f16_e32 v36, v36, v97
	v_add_f16_e32 v117, v38, v95
	v_sub_f16_e32 v38, v95, v38
	v_add_f16_e32 v119, v107, v100
	v_add_f16_e32 v120, v109, v103
	v_sub_f16_e64 v99, v132, v142
	v_sub_f16_e64 v97, v134, v140
	;; [unrolled: 1-line block ×3, first 2 shown]
	v_add_f16_e64 v118, v136, v138
	v_sub_f16_e32 v121, v107, v100
	v_sub_f16_e32 v122, v109, v103
	;; [unrolled: 1-line block ×6, first 2 shown]
	v_add_f16_e32 v123, v37, v35
	v_add_f16_e32 v124, v94, v96
	v_sub_f16_e32 v125, v37, v35
	v_sub_f16_e32 v126, v94, v96
	;; [unrolled: 1-line block ×4, first 2 shown]
	v_add_f16_e32 v127, v115, v113
	v_add_f16_e64 v128, v116, v114
	v_add_f16_e64 v131, v38, v36
	v_sub_f16_e64 v133, v38, v36
	v_sub_f16_e32 v36, v36, v34
	v_add_f16_e32 v111, v111, v119
	v_add_f16_e32 v112, v112, v120
	v_add_f16_e64 v132, v95, v97
	v_sub_f16_e64 v134, v95, v97
	v_sub_f16_e32 v97, v97, v99
	v_sub_f16_e32 v37, v33, v37
	;; [unrolled: 1-line block ×3, first 2 shown]
	v_sub_f16_e64 v129, v115, v113
	v_sub_f16_e64 v130, v116, v114
	v_sub_f16_e32 v113, v113, v117
	v_sub_f16_e32 v114, v114, v118
	;; [unrolled: 1-line block ×4, first 2 shown]
	v_add_f16_e32 v33, v123, v33
	v_add_f16_e32 v98, v124, v98
	v_mul_f16_e32 v100, 0x3a52, v100
	v_mul_f16_e32 v103, 0x3a52, v103
	v_mul_f16_e32 v119, 0x2b26, v107
	v_mul_f16_e32 v120, 0x2b26, v109
	v_mul_f16_e32 v123, 0xb846, v125
	v_mul_f16_e32 v124, 0xb846, v126
	v_mul_f16_e32 v125, 0x3b00, v35
	v_mul_f16_e32 v126, 0x3b00, v96
	v_add_f16_e32 v117, v117, v127
	v_add_f16_e64 v118, v118, v128
	v_sub_f16_e32 v38, v34, v38
	v_add_f16_e64 v34, v131, v34
	v_mul_f16_e64 v131, 0xb846, v133
	v_mul_f16_e64 v133, 0x3b00, v36
	v_add_f16_e32 v31, v31, v111
	v_add_f16_e32 v28, v28, v112
	v_sub_f16_e32 v95, v99, v95
	v_add_f16_e64 v99, v132, v99
	v_mul_f16_e64 v132, 0xb846, v134
	v_mul_f16_e64 v134, 0x3b00, v97
	v_mul_f16_e32 v113, 0x3a52, v113
	v_mul_f16_e32 v114, 0x3a52, v114
	;; [unrolled: 1-line block ×3, first 2 shown]
	v_mul_f16_e64 v128, 0x2b26, v116
	v_fmamk_f16 v107, v107, 0x2b26, v100
	v_fmamk_f16 v109, v109, 0x2b26, v103
	v_fma_f16 v119, v121, 0x39e0, -v119
	v_fma_f16 v120, v122, 0x39e0, -v120
	;; [unrolled: 1-line block ×4, first 2 shown]
	v_fmamk_f16 v121, v37, 0x3574, v123
	v_fmamk_f16 v122, v94, 0x3574, v124
	v_fma_f16 v35, v35, 0x3b00, -v123
	v_fma_f16 v96, v96, 0x3b00, -v124
	v_fma_f16 v37, v37, 0xb574, -v125
	v_fma_f16 v94, v94, 0xb574, -v126
	v_add_f16_e32 v32, v32, v117
	v_add_f16_e32 v105, v105, v118
	v_fma_f16 v125, 0x3574, v38, v131
	v_fma_f16 v36, v36, 0x3b00, -v131
	v_fma_f16 v38, v38, 0xb574, -v133
	v_fmamk_f16 v111, v111, 0xbcab, v31
	v_fmamk_f16 v112, v112, 0xbcab, v28
	v_fma_f16 v126, 0x3574, v95, v132
	v_fma_f16 v97, v97, 0x3b00, -v132
	v_fma_f16 v95, v95, 0xb574, -v134
	v_fmamk_f16 v115, v115, 0x2b26, v113
	v_fmamk_f16 v116, v116, 0x2b26, v114
	v_fma_f16 v123, v129, 0x39e0, -v127
	v_fma_f16 v124, v130, 0x39e0, -v128
	v_fma_f16 v113, v129, 0xb9e0, -v113
	v_fma_f16 v114, v130, 0xb9e0, -v114
	v_fmac_f16_e32 v121, 0x370e, v33
	v_fmac_f16_e32 v122, 0x370e, v98
	;; [unrolled: 1-line block ×6, first 2 shown]
	v_fmamk_f16 v33, v117, 0xbcab, v32
	v_fmamk_f16 v98, v118, 0xbcab, v105
	v_fmac_f16_e32 v125, 0x370e, v34
	v_fmac_f16_e32 v36, 0x370e, v34
	;; [unrolled: 1-line block ×3, first 2 shown]
	v_pack_b32_f16 v28, v31, v28
	v_pack_b32_f16 v31, v32, v105
	v_add_f16_e32 v32, v107, v111
	v_add_f16_e32 v34, v109, v112
	v_fmac_f16_e32 v126, 0x370e, v99
	v_fmac_f16_e32 v97, 0x370e, v99
	;; [unrolled: 1-line block ×3, first 2 shown]
	v_add_f16_e32 v99, v119, v111
	v_add_f16_e32 v105, v120, v112
	;; [unrolled: 1-line block ×11, first 2 shown]
	v_sub_f16_e32 v114, v34, v121
	v_add_f16_e32 v115, v94, v100
	v_sub_f16_e32 v116, v103, v37
	v_sub_f16_e32 v117, v99, v96
	v_add_f16_e32 v118, v35, v105
	v_add_f16_e32 v96, v96, v99
	v_sub_f16_e32 v35, v105, v35
	v_sub_f16_e32 v94, v100, v94
	v_add_f16_e32 v37, v37, v103
	v_sub_f16_e32 v32, v32, v122
	v_add_f16_e32 v34, v121, v34
	v_add_f16_e32 v99, v126, v107
	v_sub_f16_e32 v100, v109, v125
	v_add_f16_e32 v103, v95, v33
	v_sub_f16_e32 v105, v98, v38
	v_sub_f16_e32 v119, v111, v97
	v_add_f16_e32 v120, v36, v112
	v_add_f16_e32 v97, v97, v111
	v_sub_f16_e32 v36, v112, v36
	v_sub_f16_e32 v33, v33, v95
	v_add_f16_e32 v38, v38, v98
	v_sub_f16_e32 v95, v107, v126
	v_add_f16_e32 v98, v125, v109
	v_pack_b32_f16 v107, v113, v114
	v_pack_b32_f16 v109, v115, v116
	;; [unrolled: 1-line block ×12, first 2 shown]
	ds_store_2addr_b32 v41, v28, v107 offset1:51
	ds_store_2addr_b32 v41, v109, v111 offset0:102 offset1:153
	ds_store_2addr_b32 v41, v35, v37 offset0:204 offset1:255
	ds_store_2addr_b32 v29, v32, v31 offset0:50 offset1:101
	ds_store_2addr_b32 v29, v34, v94 offset0:152 offset1:203
	ds_store_2addr_b32 v25, v96, v36 offset0:126 offset1:177
	ds_store_2addr_b32 v30, v33, v38 offset0:100 offset1:151
	global_wb scope:SCOPE_SE
	s_wait_dscnt 0x0
	s_barrier_signal -1
	s_barrier_wait -1
	global_inv scope:SCOPE_SE
	s_clause 0x6
	global_load_b32 v98, v[26:27], off offset:1416
	global_load_b32 v94, v[26:27], off offset:1620
	;; [unrolled: 1-line block ×7, first 2 shown]
	ds_load_2addr_b32 v[26:27], v41 offset1:51
	ds_load_2addr_b32 v[31:32], v29 offset0:50 offset1:101
	ds_load_2addr_b32 v[33:34], v29 offset0:152 offset1:203
	;; [unrolled: 1-line block ×6, first 2 shown]
	s_wait_dscnt 0x6
	v_lshrrev_b32_e32 v118, 16, v26
	s_wait_dscnt 0x5
	v_lshrrev_b32_e32 v28, 16, v32
	;; [unrolled: 2-line block ×3, first 2 shown]
	v_lshrrev_b32_e32 v122, 16, v34
	s_wait_dscnt 0x2
	v_lshrrev_b32_e32 v124, 16, v37
	v_lshrrev_b32_e32 v126, 16, v38
	s_wait_dscnt 0x0
	v_lshrrev_b32_e32 v128, 16, v114
	v_lshrrev_b32_e32 v130, 16, v115
	;; [unrolled: 1-line block ×8, first 2 shown]
	s_wait_loadcnt 0x6
	v_lshrrev_b32_e32 v113, 16, v98
	s_wait_loadcnt 0x5
	v_lshrrev_b32_e32 v112, 16, v94
	;; [unrolled: 2-line block ×7, first 2 shown]
	v_mul_f16_e64 v131, v28, v113
	v_mul_f16_e64 v132, v32, v113
	;; [unrolled: 1-line block ×14, first 2 shown]
	v_fma_f16 v32, v32, v98, -v131
	v_fmac_f16_e64 v132, v28, v98
	v_fma_f16 v28, v33, v94, -v133
	v_fmac_f16_e64 v134, v120, v94
	v_fma_f16 v33, v34, v99, -v135
	v_fma_f16 v34, v37, v95, -v137
	v_fma_f16 v37, v38, v97, -v139
	v_fma_f16 v38, v114, v100, -v141
	v_fma_f16 v114, v115, v96, -v143
	v_fmac_f16_e64 v136, v122, v99
	v_fmac_f16_e64 v138, v124, v95
	;; [unrolled: 1-line block ×5, first 2 shown]
	v_sub_f16_e32 v32, v26, v32
	v_sub_f16_e64 v120, v118, v132
	v_sub_f16_e32 v122, v27, v28
	v_sub_f16_e64 v124, v119, v134
	v_sub_f16_e32 v28, v31, v114
	v_sub_f16_e32 v33, v35, v33
	v_sub_f16_e64 v126, v121, v136
	v_sub_f16_e32 v34, v36, v34
	v_sub_f16_e64 v128, v123, v138
	;; [unrolled: 2-line block ×4, first 2 shown]
	v_sub_f16_e64 v115, v129, v144
	v_fma_f16 v26, v26, 2.0, -v32
	v_fma_f16 v118, v118, 2.0, -v120
	v_fma_f16 v132, v27, 2.0, -v122
	v_fma_f16 v119, v119, 2.0, -v124
	v_fma_f16 v27, v31, 2.0, -v28
	v_pack_b32_f16 v31, v32, v120
	v_fma_f16 v35, v35, 2.0, -v33
	v_fma_f16 v121, v121, 2.0, -v126
	;; [unrolled: 1-line block ×9, first 2 shown]
	v_pack_b32_f16 v26, v26, v118
	ds_store_b32 v41, v31 offset:1428
	v_pack_b32_f16 v31, v132, v119
	v_pack_b32_f16 v32, v122, v124
	;; [unrolled: 1-line block ×12, first 2 shown]
	ds_store_2addr_b32 v41, v26, v31 offset1:51
	ds_store_2addr_b32 v29, v32, v33 offset0:152 offset1:203
	ds_store_2addr_b32 v41, v35, v36 offset0:102 offset1:153
	;; [unrolled: 1-line block ×4, first 2 shown]
	ds_store_b32 v41, v118 offset:1224
	ds_store_2addr_b32 v30, v38, v120 offset0:100 offset1:151
	global_wb scope:SCOPE_SE
	s_wait_dscnt 0x0
	s_barrier_signal -1
	s_barrier_wait -1
	global_inv scope:SCOPE_SE
	s_clause 0xb
	global_load_b32 v26, v[20:21], off offset:2856
	global_load_b32 v120, v41, s[2:3] offset:952
	global_load_b32 v121, v41, s[2:3] offset:204
	;; [unrolled: 1-line block ×11, first 2 shown]
	ds_load_2addr_b32 v[31:32], v41 offset1:51
	s_wait_dscnt 0x0
	v_lshrrev_b32_e32 v33, 16, v31
	v_lshrrev_b32_e32 v131, 16, v32
	s_wait_loadcnt 0xa
	v_lshrrev_b32_e32 v132, 16, v120
	s_wait_loadcnt 0x8
	;; [unrolled: 2-line block ×6, first 2 shown]
	v_lshrrev_b32_e32 v138, 16, v126
	v_lshrrev_b32_e32 v34, 16, v26
	s_wait_loadcnt 0x0
	v_lshrrev_b32_e32 v139, 16, v130
	s_delay_alu instid0(VALU_DEP_2) | instskip(SKIP_1) | instid1(VALU_DEP_2)
	v_mul_f16_e32 v35, v33, v34
	v_mul_f16_e32 v34, v31, v34
	v_fma_f16 v31, v31, v26, -v35
	s_delay_alu instid0(VALU_DEP_2) | instskip(SKIP_1) | instid1(VALU_DEP_2)
	v_fmac_f16_e32 v34, v33, v26
	v_add_nc_u32_e32 v26, 0x200, v41
	v_pack_b32_f16 v31, v31, v34
	ds_store_b32 v41, v31
	ds_load_2addr_b32 v[33:34], v26 offset0:110 offset1:161
	ds_load_2addr_b32 v[35:36], v25 offset0:92 offset1:143
	;; [unrolled: 1-line block ×5, first 2 shown]
	v_lshrrev_b32_e32 v31, 16, v121
	s_delay_alu instid0(VALU_DEP_1) | instskip(SKIP_1) | instid1(VALU_DEP_2)
	v_mul_f16_e64 v137, v131, v31
	v_mul_f16_e32 v31, v32, v31
	v_fma_f16 v32, v32, v121, -v137
	s_delay_alu instid0(VALU_DEP_2)
	v_fmac_f16_e64 v31, v131, v121
	v_lshrrev_b32_e32 v121, 16, v127
	v_lshrrev_b32_e32 v131, 16, v129
	;; [unrolled: 1-line block ×3, first 2 shown]
	s_wait_dscnt 0x4
	v_mul_f16_e64 v140, v33, v132
	v_pack_b32_f16 v31, v32, v31
	v_lshrrev_b32_e32 v32, 16, v33
	s_wait_dscnt 0x3
	v_lshrrev_b32_e32 v141, 16, v35
	v_lshrrev_b32_e32 v143, 16, v34
	;; [unrolled: 1-line block ×3, first 2 shown]
	s_wait_dscnt 0x2
	v_lshrrev_b32_e32 v147, 16, v37
	s_wait_dscnt 0x1
	v_lshrrev_b32_e32 v149, 16, v116
	;; [unrolled: 2-line block ×3, first 2 shown]
	v_lshrrev_b32_e32 v153, 16, v38
	v_lshrrev_b32_e32 v155, 16, v117
	v_mul_f16_e64 v142, v35, v133
	v_mul_f16_e64 v144, v34, v134
	;; [unrolled: 1-line block ×4, first 2 shown]
	v_lshrrev_b32_e32 v157, 16, v119
	v_mul_f16_e64 v132, v32, v132
	v_fmac_f16_e64 v140, v32, v120
	v_mul_f16_e64 v32, v141, v133
	v_mul_f16_e64 v133, v143, v134
	;; [unrolled: 1-line block ×13, first 2 shown]
	v_fmac_f16_e64 v148, v147, v125
	v_mul_f16_e64 v138, v157, v139
	v_fma_f16 v32, v35, v122, -v32
	v_fma_f16 v35, v36, v124, -v134
	;; [unrolled: 1-line block ×3, first 2 shown]
	v_fmac_f16_e64 v144, v143, v123
	v_fmac_f16_e64 v150, v149, v126
	v_fma_f16 v34, v34, v123, -v133
	v_fma_f16 v37, v116, v126, -v136
	v_fmac_f16_e64 v146, v145, v124
	v_fmac_f16_e64 v152, v151, v127
	v_fma_f16 v116, v118, v127, -v121
	v_fmac_f16_e64 v154, v153, v129
	v_fma_f16 v33, v33, v120, -v132
	v_fma_f16 v38, v38, v129, -v131
	v_fmac_f16_e64 v142, v141, v122
	v_fmac_f16_e64 v156, v155, v128
	v_fma_f16 v117, v117, v128, -v137
	v_fmac_f16_e64 v158, v157, v130
	v_fma_f16 v118, v119, v130, -v138
	v_pack_b32_f16 v36, v36, v148
	v_pack_b32_f16 v34, v34, v144
	;; [unrolled: 1-line block ×10, first 2 shown]
	ds_store_2addr_b32 v41, v31, v36 offset0:51 offset1:102
	ds_store_2addr_b32 v29, v34, v37 offset0:33 offset1:84
	;; [unrolled: 1-line block ×5, first 2 shown]
	ds_store_b32 v41, v118 offset:2516
	s_and_saveexec_b32 s1, vcc_lo
	s_cbranch_execz .LBB0_13
; %bb.12:
	s_wait_alu 0xfffe
	v_add_co_u32 v31, s2, s2, v41
	s_wait_alu 0xf1ff
	v_add_co_ci_u32_e64 v32, null, s3, 0, s2
	v_add_nc_u32_e32 v36, 0x300, v41
	s_clause 0x2
	global_load_b32 v33, v[31:32], off offset:816
	global_load_b32 v34, v[31:32], off offset:1768
	;; [unrolled: 1-line block ×3, first 2 shown]
	ds_load_2addr_b32 v[31:32], v36 offset0:12 offset1:250
	ds_load_b32 v37, v41 offset:2720
	s_wait_dscnt 0x1
	v_lshrrev_b32_e32 v38, 16, v31
	v_lshrrev_b32_e32 v117, 16, v32
	s_wait_dscnt 0x0
	v_lshrrev_b32_e32 v119, 16, v37
	s_wait_loadcnt 0x2
	v_lshrrev_b32_e32 v116, 16, v33
	s_wait_loadcnt 0x1
	;; [unrolled: 2-line block ×3, first 2 shown]
	v_lshrrev_b32_e32 v120, 16, v35
	v_mul_f16_e32 v121, v38, v116
	v_mul_f16_e32 v116, v31, v116
	;; [unrolled: 1-line block ×6, first 2 shown]
	v_fma_f16 v31, v31, v33, -v121
	v_fmac_f16_e32 v116, v38, v33
	v_fma_f16 v32, v32, v34, -v122
	v_fmac_f16_e32 v118, v117, v34
	;; [unrolled: 2-line block ×3, first 2 shown]
	v_pack_b32_f16 v31, v31, v116
	s_delay_alu instid0(VALU_DEP_4) | instskip(NEXT) | instid1(VALU_DEP_3)
	v_pack_b32_f16 v32, v32, v118
	v_pack_b32_f16 v33, v33, v120
	ds_store_2addr_b32 v36, v31, v32 offset0:12 offset1:250
	ds_store_b32 v41, v33 offset:2720
.LBB0_13:
	s_wait_alu 0xfffe
	s_or_b32 exec_lo, exec_lo, s1
	global_wb scope:SCOPE_SE
	s_wait_dscnt 0x0
	s_barrier_signal -1
	s_barrier_wait -1
	global_inv scope:SCOPE_SE
	ds_load_2addr_b32 v[35:36], v41 offset1:51
	ds_load_2addr_b32 v[37:38], v26 offset0:110 offset1:161
	ds_load_2addr_b32 v[25:26], v25 offset0:92 offset1:143
	;; [unrolled: 1-line block ×5, first 2 shown]
	s_and_saveexec_b32 s1, vcc_lo
	s_cbranch_execz .LBB0_15
; %bb.14:
	v_add_nc_u32_e32 v27, 0x300, v41
	ds_load_2addr_b32 v[27:28], v27 offset0:12 offset1:250
	ds_load_b32 v92, v41 offset:2720
	s_wait_dscnt 0x1
	v_lshrrev_b32_e32 v114, 16, v27
	v_lshrrev_b32_e32 v115, 16, v28
	s_wait_dscnt 0x0
	v_lshrrev_b32_e32 v93, 16, v92
.LBB0_15:
	s_wait_alu 0xfffe
	s_or_b32 exec_lo, exec_lo, s1
	s_wait_dscnt 0x3
	v_pk_add_f16 v116, v37, v25
	v_pk_add_f16 v117, v37, v25 neg_lo:[0,1] neg_hi:[0,1]
	v_pk_add_f16 v37, v35, v37
	v_pk_add_f16 v118, v38, v26
	v_pk_add_f16 v119, v38, v26 neg_lo:[0,1] neg_hi:[0,1]
	v_pk_fma_f16 v121, v116, 0.5, v35 op_sel_hi:[1,0,1] neg_lo:[1,0,0] neg_hi:[1,0,0]
	v_pk_add_f16 v35, v36, v38
	v_pk_add_f16 v25, v37, v25
	v_pk_fma_f16 v123, v118, 0.5, v36 op_sel_hi:[1,0,1] neg_lo:[1,0,0] neg_hi:[1,0,0]
	s_wait_dscnt 0x0
	v_pk_add_f16 v36, v34, v30
	v_pk_add_f16 v37, v34, v30 neg_lo:[0,1] neg_hi:[0,1]
	v_pk_add_f16 v38, v35, v26
	v_pk_add_f16 v26, v33, v29
	v_pk_add_f16 v35, v33, v29 neg_lo:[0,1] neg_hi:[0,1]
	v_pk_add_f16 v33, v31, v33
	v_pk_add_f16 v34, v32, v34
	v_pk_mul_f16 v122, 0x3aee, v117 op_sel_hi:[0,1]
	v_pk_fma_f16 v26, v26, 0.5, v31 op_sel_hi:[1,0,1] neg_lo:[1,0,0] neg_hi:[1,0,0]
	v_pk_mul_f16 v125, 0x3aee, v37 op_sel_hi:[0,1]
	v_pk_add_f16 v31, v33, v29
	v_pk_add_f16 v30, v34, v30
	v_add_f16_e32 v33, v93, v115
	v_add_f16_e32 v34, v28, v27
	;; [unrolled: 1-line block ×4, first 2 shown]
	v_pk_mul_f16 v119, 0x3aee, v119 op_sel_hi:[0,1]
	v_pk_add_f16 v120, v121, v122 op_sel:[0,1] op_sel_hi:[1,0] neg_lo:[0,1] neg_hi:[0,1]
	v_pk_mul_f16 v124, 0x3aee, v35 op_sel_hi:[0,1]
	v_fmac_f16_e32 v114, -0.5, v33
	v_sub_f16_e32 v28, v28, v92
	v_add_f16_e32 v35, v92, v34
	v_add_f16_e32 v92, v93, v37
	v_pk_add_f16 v37, v121, v122 op_sel:[0,1] op_sel_hi:[1,0]
	v_fmac_f16_e32 v27, -0.5, v29
	v_sub_f16_e32 v29, v115, v93
	v_pk_fma_f16 v32, v36, 0.5, v32 op_sel_hi:[1,0,1] neg_lo:[1,0,0] neg_hi:[1,0,0]
	v_pk_add_f16 v118, v123, v119 op_sel:[0,1] op_sel_hi:[1,0] neg_lo:[0,1] neg_hi:[0,1]
	v_fmamk_f16 v93, v28, 0x3aee, v114
	v_fmac_f16_e32 v114, 0xbaee, v28
	v_bfi_b32 v28, 0xffff, v37, v120
	v_bfi_b32 v33, 0xffff, v120, v37
	v_pk_add_f16 v34, v123, v119 op_sel:[0,1] op_sel_hi:[1,0]
	v_pk_add_f16 v116, v26, v124 op_sel:[0,1] op_sel_hi:[1,0] neg_lo:[0,1] neg_hi:[0,1]
	v_fmamk_f16 v36, v29, 0xbaee, v27
	v_fmac_f16_e32 v27, 0x3aee, v29
	v_pk_add_f16 v29, v26, v124 op_sel:[0,1] op_sel_hi:[1,0]
	v_pk_add_f16 v117, v32, v125 op_sel:[0,1] op_sel_hi:[1,0] neg_lo:[0,1] neg_hi:[0,1]
	global_wb scope:SCOPE_SE
	s_barrier_signal -1
	s_barrier_wait -1
	global_inv scope:SCOPE_SE
	ds_store_b32 v40, v25
	ds_store_2addr_b32 v40, v33, v28 offset0:1 offset1:2
	v_pk_add_f16 v40, v32, v125 op_sel:[0,1] op_sel_hi:[1,0]
	v_bfi_b32 v26, 0xffff, v34, v118
	v_bfi_b32 v28, 0xffff, v118, v34
	;; [unrolled: 1-line block ×6, first 2 shown]
	ds_store_b32 v39, v38
	ds_store_2addr_b32 v39, v28, v26 offset0:1 offset1:2
	ds_store_b32 v75, v31
	ds_store_2addr_b32 v75, v33, v32 offset0:1 offset1:2
	;; [unrolled: 2-line block ×3, first 2 shown]
	s_and_saveexec_b32 s1, vcc_lo
	s_cbranch_execz .LBB0_17
; %bb.16:
	v_lshlrev_b32_e32 v26, 2, v74
	v_perm_b32 v28, v93, v36, 0x5040100
	v_perm_b32 v32, v92, v35, 0x5040100
	;; [unrolled: 1-line block ×3, first 2 shown]
	ds_store_2addr_b32 v26, v32, v28 offset1:1
	ds_store_b32 v26, v33 offset:8
.LBB0_17:
	s_wait_alu 0xfffe
	s_or_b32 exec_lo, exec_lo, s1
	v_lshrrev_b32_e32 v121, 16, v34
	v_lshrrev_b32_e32 v115, 16, v29
	;; [unrolled: 1-line block ×4, first 2 shown]
	global_wb scope:SCOPE_SE
	s_wait_dscnt 0x0
	s_barrier_signal -1
	s_barrier_wait -1
	global_inv scope:SCOPE_SE
	s_and_saveexec_b32 s1, s0
	s_cbranch_execz .LBB0_19
; %bb.18:
	v_add_nc_u32_e32 v27, 0x200, v41
	v_add_nc_u32_e32 v29, 0x400, v41
	;; [unrolled: 1-line block ×4, first 2 shown]
	ds_load_2addr_b32 v[25:26], v41 offset1:42
	ds_load_2addr_b32 v[33:34], v41 offset0:168 offset1:210
	ds_load_b32 v88, v41 offset:2688
	ds_load_2addr_b32 v[37:38], v41 offset0:84 offset1:126
	ds_load_2addr_b32 v[31:32], v27 offset0:124 offset1:166
	;; [unrolled: 1-line block ×6, first 2 shown]
	s_wait_dscnt 0x4
	v_lshrrev_b32_e32 v115, 16, v32
	v_lshrrev_b32_e32 v74, 16, v26
	;; [unrolled: 1-line block ×3, first 2 shown]
	s_wait_dscnt 0x1
	v_mov_b32_e32 v91, v28
	v_lshrrev_b32_e32 v90, 16, v88
	v_bfi_b32 v118, 0xffff, v33, v34
	v_bfi_b32 v120, 0xffff, v26, v37
	v_lshrrev_b32_e32 v119, 16, v39
	v_lshrrev_b32_e32 v92, 16, v35
	;; [unrolled: 1-line block ×5, first 2 shown]
	v_bfi_b32 v117, 0xffff, v39, v40
	s_wait_dscnt 0x0
	v_bfi_b32 v116, 0xffff, v32, v29
.LBB0_19:
	s_wait_alu 0xfffe
	s_or_b32 exec_lo, exec_lo, s1
	global_wb scope:SCOPE_SE
	s_barrier_signal -1
	s_barrier_wait -1
	global_inv scope:SCOPE_SE
	s_and_saveexec_b32 s1, s0
	s_cbranch_execz .LBB0_21
; %bb.20:
	v_mul_f16_e32 v39, v85, v74
	v_mul_f16_e32 v28, v87, v90
	v_lshrrev_b32_e32 v75, 16, v120
	v_mul_f16_e32 v26, v87, v88
	v_mul_f16_e32 v33, v85, v120
	v_fmac_f16_e32 v39, v8, v120
	v_fmac_f16_e32 v28, v15, v88
	v_mul_f16_e32 v76, v84, v75
	v_mul_f16_e32 v32, v86, v89
	v_fma_f16 v26, v15, v90, -v26
	v_fma_f16 v74, v8, v74, -v33
	v_sub_f16_e32 v15, v39, v28
	v_fmac_f16_e32 v76, v9, v37
	v_mul_f16_e32 v37, v84, v37
	v_lshrrev_b32_e32 v85, 16, v38
	v_fmac_f16_e32 v32, v14, v91
	v_mul_f16_e32 v33, v86, v91
	v_mul_f16_e64 v132, 0xbbf7, v15
	v_add_f16_e32 v88, v26, v74
	v_fma_f16 v75, v9, v75, -v37
	v_mul_f16_e32 v84, v82, v85
	v_mul_f16_e32 v37, v83, v114
	v_sub_f16_e32 v8, v76, v32
	v_fma_f16 v33, v14, v89, -v33
	v_fma_f16 v9, 0x2de8, v88, v132
	v_lshrrev_b32_e32 v14, 16, v25
	v_fmac_f16_e32 v84, v10, v38
	v_fmac_f16_e32 v37, v13, v27
	v_mul_f16_e32 v27, v83, v27
	v_mul_f16_e32 v82, v82, v38
	v_mul_f16_e64 v134, 0xb1e1, v8
	v_add_f16_e32 v89, v33, v75
	v_add_f16_e32 v86, v14, v9
	v_mul_f16_e32 v38, v81, v93
	v_sub_f16_e32 v9, v84, v37
	v_fma_f16 v13, v13, v114, -v27
	v_fma_f16 v82, v10, v85, -v82
	v_fma_f16 v87, 0xbbdd, v89, v134
	v_mul_f16_e32 v83, v80, v121
	v_fmac_f16_e32 v38, v12, v36
	v_mul_f16_e32 v27, v81, v36
	v_mul_f16_e32 v36, v80, v118
	v_mul_f16_e64 v135, 0x3bb2, v9
	v_add_f16_e32 v91, v13, v82
	v_fmac_f16_e32 v83, v11, v118
	v_fma_f16 v12, v12, v93, -v27
	v_fma_f16 v80, v11, v121, -v36
	v_lshrrev_b32_e32 v27, 16, v118
	v_add_f16_e32 v11, v87, v86
	v_fma_f16 v36, 0xb461, v91, v135
	v_lshrrev_b32_e32 v90, 16, v31
	v_lshrrev_b32_e32 v114, 16, v117
	v_mul_f16_e32 v81, v78, v27
	v_sub_f16_e32 v10, v83, v38
	v_add_f16_e32 v86, v36, v11
	v_mul_f16_e32 v36, v79, v92
	v_mul_f16_e32 v85, v73, v90
	v_fmac_f16_e32 v81, v0, v34
	v_mul_f16_e32 v34, v78, v34
	v_mul_f16_e32 v78, v77, v114
	v_fmac_f16_e32 v36, v7, v35
	v_mul_f16_e32 v35, v79, v35
	v_mul_f16_e64 v136, 0x35c8, v10
	v_add_f16_e32 v93, v12, v80
	v_fma_f16 v79, v0, v27, -v34
	v_sub_f16_e32 v11, v81, v36
	v_fma_f16 v35, v7, v92, -v35
	v_fmac_f16_e32 v85, v1, v31
	v_fmac_f16_e32 v78, v6, v40
	v_mul_f16_e32 v7, v77, v40
	v_mul_f16_e32 v27, v73, v31
	v_fma_f16 v87, 0x3b76, v93, v136
	v_mul_f16_e64 v140, 0xbb29, v11
	v_add_f16_e32 v120, v35, v79
	v_sub_f16_e32 v0, v85, v78
	v_fma_f16 v73, v6, v114, -v7
	v_fma_f16 v77, v1, v90, -v27
	v_add_f16_e32 v1, v87, v86
	v_fma_f16 v6, 0x3722, v120, v140
	v_mul_f16_e64 v138, 0xb836, v0
	v_mul_f16_e32 v87, v71, v115
	v_add_f16_e32 v121, v73, v77
	v_mul_f16_e32 v86, v72, v119
	v_mul_f16_e32 v7, v72, v117
	v_sub_f16_e32 v123, v74, v26
	v_add_f16_e32 v1, v6, v1
	v_fma_f16 v6, 0xbacd, v121, v138
	v_fmac_f16_e32 v87, v2, v116
	v_fmac_f16_e32 v86, v5, v117
	v_mul_f16_e32 v27, v71, v116
	v_fma_f16 v71, v5, v119, -v7
	v_add_f16_e32 v5, v28, v39
	v_mul_f16_e64 v150, 0xbbf7, v123
	v_sub_f16_e32 v118, v75, v33
	v_add_f16_e32 v31, v6, v1
	v_sub_f16_e32 v1, v87, v86
	v_fma_f16 v72, v2, v115, -v27
	v_lshrrev_b32_e32 v34, 16, v116
	v_lshrrev_b32_e32 v40, 16, v30
	v_fma_f16 v7, v5, 0x2de8, -v150
	v_add_f16_e32 v6, v32, v76
	v_mul_f16_e64 v142, 0xb1e1, v118
	v_sub_f16_e32 v119, v82, v13
	v_mul_f16_e64 v139, 0x3a62, v1
	v_add_f16_e32 v115, v71, v72
	v_mul_f16_e32 v92, v69, v34
	v_mul_f16_e32 v90, v70, v40
	v_add_f16_e32 v27, v25, v7
	v_fma_f16 v114, v6, 0xbbdd, -v142
	v_add_f16_e32 v7, v37, v84
	v_mul_f16_e64 v144, 0x3bb2, v119
	v_sub_f16_e32 v122, v80, v12
	v_fma_f16 v2, 0xb8d2, v115, v139
	v_fmac_f16_e32 v92, v3, v29
	v_fmac_f16_e32 v90, v4, v30
	v_mul_f16_e32 v30, v70, v30
	v_mul_f16_e32 v29, v69, v29
	v_add_f16_e32 v69, v114, v27
	v_fma_f16 v70, v7, 0xb461, -v144
	v_add_f16_e32 v27, v38, v83
	v_mul_f16_e64 v146, 0x35c8, v122
	v_sub_f16_e32 v124, v79, v35
	v_add_f16_e32 v31, v2, v31
	v_sub_f16_e32 v2, v92, v90
	v_fma_f16 v114, v4, v40, -v30
	v_fma_f16 v117, v3, v34, -v29
	v_add_f16_e32 v3, v70, v69
	v_fma_f16 v29, v27, 0x3b76, -v146
	v_add_f16_e32 v4, v36, v81
	v_mul_f16_e64 v147, 0xbb29, v124
	v_sub_f16_e32 v125, v77, v73
	v_mul_f16_e64 v145, 0x3964, v2
	v_add_f16_e64 v128, v114, v117
	v_add_f16_e32 v3, v29, v3
	v_fma_f16 v30, v4, 0x3722, -v147
	v_add_f16_e32 v29, v78, v85
	v_mul_f16_e64 v148, 0xb836, v125
	v_fma_f16 v34, 0x39e9, v128, v145
	v_sub_f16_e32 v126, v72, v71
	v_add_f16_e32 v40, v30, v3
	v_mul_f16_e64 v153, 0xbbb2, v15
	v_fma_f16 v69, v29, 0xbacd, -v148
	v_add_f16_e32 v3, v34, v31
	v_add_f16_e32 v30, v86, v87
	v_mul_f16_e64 v151, 0x3a62, v126
	v_sub_f16_e32 v127, v117, v114
	v_add_f16_e32 v34, v69, v40
	v_fma_f16 v40, 0xb461, v88, v153
	v_mul_f16_e64 v163, 0x3836, v8
	v_fma_f16 v69, v30, 0xb8d2, -v151
	v_add_f16_e32 v31, v90, v92
	v_mul_f16_e64 v149, 0x3964, v127
	v_add_f16_e32 v40, v14, v40
	v_fma_f16 v70, 0xbacd, v89, v163
	v_mul_f16_e64 v154, 0x3964, v9
	v_add_f16_e32 v34, v69, v34
	v_fma_f16 v69, v31, 0x39e9, -v149
	v_mul_f16_e64 v164, 0xbbb2, v123
	v_add_f16_e32 v40, v70, v40
	v_fma_f16 v70, 0x39e9, v91, v154
	v_mul_f16_e64 v165, 0xbb29, v10
	v_add_f16_e32 v34, v69, v34
	v_fma_f16 v69, v5, 0xb461, -v164
	v_mul_f16_e64 v166, 0x3836, v118
	v_add_f16_e32 v40, v70, v40
	v_fma_f16 v70, 0x3722, v93, v165
	v_mul_f16_e64 v167, 0xb1e1, v11
	v_add_f16_e32 v69, v25, v69
	v_fma_f16 v116, v6, 0xbacd, -v166
	v_mul_f16_e64 v157, 0x3964, v119
	v_add_f16_e32 v40, v70, v40
	v_fma_f16 v70, 0xbbdd, v120, v167
	v_mul_f16_e64 v156, 0x3bf7, v0
	v_add_f16_e32 v69, v116, v69
	v_fma_f16 v116, v7, 0x39e9, -v157
	v_mul_f16_e64 v159, 0xbb29, v122
	v_add_f16_e32 v40, v70, v40
	v_fma_f16 v70, 0x2de8, v121, v156
	v_mul_f16_e64 v158, 0xb5c8, v1
	v_add_f16_e32 v69, v116, v69
	v_fma_f16 v116, v27, 0x3722, -v159
	v_mul_f16_e64 v162, 0xb1e1, v124
	v_add_f16_e32 v40, v70, v40
	v_fma_f16 v70, 0x3b76, v115, v158
	v_mul_f16_e64 v161, 0xba62, v2
	v_add_f16_e32 v69, v116, v69
	v_fma_f16 v116, v4, 0xbbdd, -v162
	v_mul_f16_e64 v168, 0x3bf7, v125
	v_add_f16_e32 v40, v70, v40
	v_fma_f16 v70, 0xb8d2, v128, v161
	v_mul_f16_e64 v143, 0xba62, v15
	v_add_f16_e32 v69, v116, v69
	v_fma_f16 v116, v29, 0x2de8, -v168
	v_mul_f16_e64 v160, 0xb5c8, v126
	v_add_f16_e32 v40, v70, v40
	v_fma_f16 v70, 0xb8d2, v88, v143
	v_mul_f16_e64 v152, 0x3bb2, v8
	v_add_f16_e32 v69, v116, v69
	v_fma_f16 v116, v30, 0x3b76, -v160
	v_mul_f16_e64 v155, 0xba62, v127
	v_add_f16_e32 v70, v14, v70
	v_fma_f16 v129, 0xb461, v89, v152
	v_mul_f16_e64 v169, 0xb5c8, v9
	v_add_f16_e32 v69, v116, v69
	v_fma_f16 v116, v31, 0xb8d2, -v155
	v_mul_f16_e64 v170, 0xba62, v123
	v_add_f16_e64 v70, v129, v70
	v_fma_f16 v129, 0x3b76, v91, v169
	v_mul_f16_e64 v171, 0xb836, v10
	v_add_f16_e32 v69, v116, v69
	v_fma_f16 v116, v5, 0xb8d2, -v170
	v_mul_f16_e64 v172, 0x3bb2, v118
	v_add_f16_e64 v70, v129, v70
	v_fma_f16 v129, 0xbacd, v93, v171
	v_mul_f16_e64 v173, 0x3bf7, v11
	v_add_f16_e32 v116, v25, v116
	v_fma_f16 v130, v6, 0xb461, -v172
	v_mul_f16_e64 v174, 0xb5c8, v119
	v_add_f16_e64 v70, v129, v70
	v_fma_f16 v129, 0x2de8, v120, v173
	v_mul_f16_e64 v175, 0xb964, v0
	v_add_f16_e64 v116, v130, v116
	v_fma_f16 v130, v7, 0x3b76, -v174
	v_mul_f16_e64 v176, 0xb836, v122
	v_add_f16_e64 v70, v129, v70
	v_fma_f16 v129, 0x39e9, v121, v175
	v_mul_f16_e64 v177, 0xb1e1, v1
	v_add_f16_e64 v116, v130, v116
	;; [unrolled: 6-line block ×19, first 2 shown]
	v_fma_f16 v205, v4, 0xb8d2, -v210
	v_mul_f16_e64 v212, 0x3b29, v125
	v_fma_f16 v195, v88, 0xbbdd, -v195
	v_add_f16_e64 v131, v199, v131
	v_fma_f16 v199, 0x2de8, v128, v211
	v_add_f16_e64 v133, v205, v133
	v_fma_f16 v205, v29, 0x3722, -v212
	v_add_f16_e64 v195, v14, v195
	v_fma_f16 v197, v89, 0x3b76, -v197
	v_add_f16_e64 v131, v199, v131
	v_mul_f16_e64 v199, 0xbbb2, v126
	v_fmac_f16_e64 v201, 0xbbdd, v5
	v_fma_f16 v143, v88, 0xb8d2, -v143
	v_add_f16_e64 v133, v205, v133
	v_add_f16_e64 v195, v197, v195
	v_fma_f16 v197, v91, 0xbacd, -v200
	v_fma_f16 v200, v30, 0xb461, -v199
	v_mul_f16_e64 v205, 0x3bf7, v127
	v_add_f16_e64 v201, v25, v201
	v_fmac_f16_e64 v203, 0x3b76, v6
	v_add_f16_e64 v143, v14, v143
	v_fma_f16 v152, v89, 0xb461, -v152
	v_add_f16_e64 v133, v200, v133
	v_fma_f16 v200, v31, 0x2de8, -v205
	v_add_f16_e64 v201, v203, v201
	v_fmac_f16_e64 v206, 0xbacd, v7
	v_add_f16_e64 v152, v152, v143
	v_fma_f16 v169, v91, 0x3b76, -v169
	v_add_f16_e64 v133, v200, v133
	v_fma_f16 v137, v88, 0xbacd, -v137
	v_add_f16_e64 v200, v206, v201
	v_fmac_f16_e64 v208, 0x39e9, v27
	v_add_f16_e64 v152, v169, v152
	v_fma_f16 v169, v93, 0xbacd, -v171
	v_fma_f16 v132, v88, 0x2de8, -v132
	v_add_f16_e64 v137, v14, v137
	v_fma_f16 v141, v89, 0x3722, -v141
	v_add_f16_e64 v200, v208, v200
	v_fmac_f16_e64 v210, 0xb8d2, v4
	v_fmac_f16_e64 v170, 0xb8d2, v5
	v_add_f16_e64 v152, v169, v152
	v_fma_f16 v169, v120, 0x2de8, -v173
	v_add_f16_e64 v132, v14, v132
	v_fma_f16 v134, v89, 0xbbdd, -v134
	;; [unrolled: 2-line block ×3, first 2 shown]
	v_add_f16_e64 v183, v210, v200
	v_fmac_f16_e64 v212, 0x3722, v29
	v_add_f16_e64 v170, v25, v170
	v_fmac_f16_e64 v172, 0xb461, v6
	v_add_f16_e64 v152, v169, v152
	v_fma_f16 v169, v121, 0x39e9, -v175
	v_fmac_f16_e64 v164, 0xb461, v5
	v_add_f16_e64 v132, v134, v132
	v_fma_f16 v134, v91, 0xb461, -v135
	v_add_f16_e64 v141, v141, v137
	v_fma_f16 v185, v93, 0xb8d2, -v185
	v_add_f16_e64 v183, v212, v183
	v_fmac_f16_e64 v199, 0xb461, v30
	v_fmac_f16_e64 v184, 0xbacd, v5
	v_add_f16_e64 v170, v172, v170
	v_add_f16_e64 v169, v169, v152
	v_fma_f16 v172, v115, 0xbbdd, -v177
	v_fma_f16 v153, v88, 0xb461, -v153
	v_add_f16_e64 v164, v25, v164
	v_fmac_f16_e64 v166, 0xbacd, v6
	v_add_f16_e64 v134, v134, v132
	v_fma_f16 v136, v93, 0x3b76, -v136
	v_fmac_f16_e64 v150, 0x2de8, v5
	v_add_f16_e64 v141, v185, v141
	v_fma_f16 v185, v120, 0x3b76, -v187
	v_add_f16_e64 v183, v199, v183
	v_fmac_f16_e64 v205, 0x2de8, v31
	v_add_f16_e64 v184, v25, v184
	v_fmac_f16_e64 v186, 0x3722, v6
	v_add_f16_e64 v169, v172, v169
	v_add_f16_e64 v172, v14, v153
	v_fma_f16 v163, v89, 0xbacd, -v163
	v_add_f16_e64 v164, v166, v164
	v_fmac_f16_e64 v157, 0x39e9, v7
	v_add_f16_e64 v134, v136, v134
	v_fma_f16 v136, v120, 0x3722, -v140
	v_add_f16_e64 v140, v25, v150
	v_fmac_f16_e64 v142, 0xbbdd, v6
	v_add_f16_e64 v185, v185, v141
	v_add_f16_e64 v141, v205, v183
	;; [unrolled: 1-line block ×3, first 2 shown]
	v_fmac_f16_e64 v188, 0x2de8, v7
	v_add_f16_e64 v163, v163, v172
	v_fma_f16 v154, v91, 0x39e9, -v154
	v_add_f16_e64 v157, v157, v164
	v_fmac_f16_e64 v159, 0x3722, v27
	v_add_f16_e64 v134, v136, v134
	v_fma_f16 v138, v121, 0xbacd, -v138
	v_add_f16_e64 v140, v142, v140
	v_fmac_f16_e64 v144, 0xb461, v7
	v_add_f16_e64 v183, v188, v183
	v_fmac_f16_e64 v190, 0xb8d2, v27
	v_add_f16_e64 v154, v154, v163
	v_fma_f16 v163, v93, 0x3722, -v165
	v_add_f16_e64 v157, v159, v157
	v_fmac_f16_e64 v162, 0xbbdd, v4
	v_add_f16_e64 v134, v138, v134
	v_add_f16_e64 v138, v144, v140
	v_fmac_f16_e64 v146, 0x3b76, v27
	v_add_f16_e64 v183, v190, v183
	v_fmac_f16_e64 v192, 0x3b76, v4
	v_add_f16_e64 v163, v163, v154
	v_fma_f16 v166, v120, 0xbbdd, -v167
	v_add_f16_e64 v135, v162, v157
	v_fmac_f16_e64 v168, 0x2de8, v29
	v_fma_f16 v139, v115, 0xb8d2, -v139
	v_add_f16_e64 v138, v146, v138
	v_fmac_f16_e64 v147, 0x3722, v4
	v_add_f16_e64 v171, v192, v183
	v_fmac_f16_e64 v194, 0xbbdd, v29
	v_fmac_f16_e64 v174, 0x3b76, v7
	v_add_f16_e64 v163, v166, v163
	v_fma_f16 v156, v121, 0x2de8, -v156
	v_add_f16_e64 v135, v168, v135
	v_fmac_f16_e64 v160, 0x3b76, v30
	v_add_f16_e64 v134, v139, v134
	v_add_f16_e64 v138, v147, v138
	v_fmac_f16_e64 v148, 0xbacd, v29
	v_fma_f16 v145, v128, 0x39e9, -v145
	v_add_f16_e64 v171, v194, v171
	v_fmac_f16_e64 v196, 0x39e9, v30
	v_add_f16_e64 v170, v174, v170
	v_fmac_f16_e64 v176, 0xbacd, v27
	v_add_f16_e64 v156, v156, v163
	v_fma_f16 v158, v115, 0x3b76, -v158
	v_add_f16_e64 v135, v160, v135
	v_fmac_f16_e64 v155, 0xb8d2, v31
	v_add_f16_e64 v138, v148, v138
	v_fmac_f16_e64 v151, 0xb8d2, v30
	v_add_f16_e64 v134, v145, v134
	v_mul_f16_e64 v145, 0xbb29, v123
	v_add_f16_e64 v171, v196, v171
	v_fmac_f16_e64 v198, 0xb461, v31
	v_add_f16_e64 v170, v176, v170
	v_fmac_f16_e64 v178, 0x2de8, v4
	v_add_f16_e64 v156, v158, v156
	v_fma_f16 v157, v128, 0xb8d2, -v161
	v_add_f16_e64 v135, v155, v135
	v_add_f16_e64 v138, v151, v138
	v_fmac_f16_e64 v149, 0x39e9, v31
	v_fma_f16 v151, 0x3722, v5, v145
	v_mul_f16_e64 v155, 0xba62, v118
	v_add_f16_e64 v152, v198, v171
	v_fma_f16 v171, v128, 0x3722, -v179
	v_add_f16_e64 v170, v178, v170
	v_fmac_f16_e64 v180, 0x39e9, v29
	v_add_f16_e64 v132, v157, v156
	v_mul_f16_e64 v136, 0x3722, v88
	v_add_f16_e64 v138, v149, v138
	v_add_f16_e64 v149, v25, v151
	v_fma_f16 v151, 0xb8d2, v6, v155
	v_mul_f16_e64 v156, 0x31e1, v119
	v_add_f16_e64 v153, v171, v169
	v_add_f16_e64 v169, v180, v170
	v_fmac_f16_e64 v181, 0xbbdd, v30
	v_fma_f16 v142, 0x3b29, v15, v136
	v_mul_f16_e64 v150, 0xb8d2, v89
	v_add_f16_e64 v149, v151, v149
	v_fma_f16 v151, 0xbbdd, v7, v156
	v_mul_f16_e64 v158, 0x3bb2, v122
	v_add_f16_e64 v165, v181, v169
	v_fmac_f16_e64 v182, 0x3722, v31
	v_add_f16_e64 v140, v14, v142
	v_fma_f16 v142, 0x3a62, v8, v150
	v_mul_f16_e64 v144, 0xbbdd, v91
	v_add_f16_e64 v149, v151, v149
	v_fma_f16 v151, 0xb461, v27, v158
	v_mul_f16_e64 v162, 0x3964, v124
	v_add_f16_e64 v154, v182, v165
	v_add_f16_e64 v140, v142, v140
	v_fma_f16 v142, 0xb1e1, v9, v144
	v_mul_f16_e64 v146, 0xb461, v93
	v_add_f16_e64 v149, v151, v149
	v_fma_f16 v151, 0x39e9, v4, v162
	v_mul_f16_e64 v165, 0xb5c8, v125
	;; [unrolled: 3-line block ×5, first 2 shown]
	v_mul_f16_e64 v157, 0x39e9, v88
	v_add_f16_e64 v149, v151, v149
	v_fma_f16 v151, 0x2de8, v30, v167
	v_add_f16_e64 v139, v140, v139
	v_fma_f16 v140, 0x35c8, v0, v147
	v_mul_f16_e64 v148, 0x2de8, v115
	v_fma_f16 v160, 0x3964, v15, v157
	v_mul_f16_e64 v161, 0x2de8, v89
	v_add_f16_e64 v149, v151, v149
	v_mul_f16_e64 v151, 0xb836, v127
	v_mul_f16_e64 v169, 0xb964, v123
	v_add_f16_e64 v139, v140, v139
	v_fma_f16 v140, 0x3bf7, v1, v148
	v_add_f16_e64 v160, v14, v160
	v_fma_f16 v163, 0x3bf7, v8, v161
	v_mul_f16_e64 v164, 0xb8d2, v91
	v_fma_f16 v171, 0xbacd, v31, v151
	v_fma_f16 v172, 0x39e9, v5, v169
	v_mul_f16_e64 v173, 0xbbf7, v118
	v_add_f16_e64 v139, v140, v139
	v_mul_f16_e64 v140, 0xbacd, v128
	v_add_f16_e64 v160, v163, v160
	v_fma_f16 v163, 0x3a62, v9, v164
	v_mul_f16_e64 v166, 0xbbdd, v93
	v_add_f16_e64 v149, v171, v149
	v_add_f16_e64 v171, v25, v172
	v_fma_f16 v172, 0x2de8, v6, v173
	v_mul_f16_e64 v174, 0xba62, v119
	v_mul_f16_e32 v88, 0x3b76, v88
	v_add_f16_e32 v39, v25, v39
	v_fma_f16 v159, 0x3836, v2, v140
	v_add_f16_e64 v160, v163, v160
	v_fma_f16 v163, 0x31e1, v10, v166
	v_mul_f16_e64 v168, 0xbacd, v120
	v_add_f16_e64 v171, v172, v171
	v_fma_f16 v172, 0xb8d2, v7, v174
	v_mul_f16_e64 v175, 0xb1e1, v122
	v_fma_f16 v177, 0x35c8, v15, v88
	v_mul_f16_e32 v89, 0x39e9, v89
	v_add_f16_e32 v39, v76, v39
	v_add_f16_e64 v139, v159, v139
	v_add_f16_e64 v159, v163, v160
	v_fma_f16 v160, 0xb836, v11, v168
	v_mul_f16_e64 v163, 0xb461, v121
	v_add_f16_e64 v171, v172, v171
	v_fma_f16 v172, 0xbbdd, v27, v175
	v_mul_f16_e64 v178, 0x3836, v124
	v_add_f16_e64 v177, v14, v177
	v_fma_f16 v179, 0x3964, v8, v89
	v_mul_f16_e32 v91, 0x3722, v91
	v_add_f16_e32 v39, v84, v39
	v_add_f16_e32 v74, v74, v14
	v_add_f16_e64 v195, v197, v195
	v_fma_f16 v197, v93, 0x39e9, -v202
	v_add_f16_e64 v159, v160, v159
	v_fma_f16 v160, 0xbbb2, v0, v163
	v_mul_f16_e64 v170, 0x3722, v115
	v_add_f16_e64 v171, v172, v171
	v_fma_f16 v172, 0xbacd, v4, v178
	v_mul_f16_e64 v180, 0x3bb2, v125
	v_add_f16_e64 v177, v179, v177
	v_fma_f16 v179, 0x3b29, v9, v91
	v_mul_f16_e32 v93, 0x2de8, v93
	v_mul_f16_e32 v123, 0xb5c8, v123
	v_add_f16_e32 v39, v83, v39
	v_add_f16_e32 v74, v75, v74
	v_add_f16_e64 v195, v197, v195
	v_fma_f16 v197, v120, 0xb8d2, -v204
	v_add_f16_e64 v159, v160, v159
	v_fma_f16 v160, 0xbb29, v1, v170
	v_add_f16_e64 v171, v172, v171
	v_fma_f16 v172, 0xb461, v29, v180
	v_mul_f16_e64 v181, 0x3b29, v126
	v_add_f16_e64 v177, v179, v177
	v_fma_f16 v179, 0x3bf7, v10, v93
	v_mul_f16_e32 v120, 0xb461, v120
	v_fmamk_f16 v84, v5, 0x3b76, v123
	v_mul_f16_e32 v118, 0xb964, v118
	v_add_f16_e32 v39, v81, v39
	v_add_f16_e32 v74, v82, v74
	v_add_f16_e64 v195, v197, v195
	v_fma_f16 v197, v121, 0x3722, -v207
	v_fma_f16 v187, v121, 0xbbdd, -v189
	v_add_f16_e64 v159, v160, v159
	v_mul_f16_e64 v160, 0x3b76, v128
	v_add_f16_e64 v171, v172, v171
	v_fma_f16 v172, 0x3722, v30, v181
	v_mul_f16_e64 v182, 0x35c8, v127
	v_add_f16_e64 v177, v179, v177
	v_fma_f16 v179, 0x3bb2, v11, v120
	v_mul_f16_e32 v121, 0xb8d2, v121
	v_add_f16_e32 v75, v25, v84
	v_fmamk_f16 v83, v6, 0x39e9, v118
	v_mul_f16_e32 v84, 0xbb29, v119
	v_add_f16_e32 v39, v85, v39
	v_add_f16_e32 v74, v80, v74
	v_add_f16_e64 v195, v197, v195
	v_fma_f16 v197, v115, 0xb461, -v209
	v_add_f16_e64 v184, v187, v185
	v_fma_f16 v185, v115, 0x39e9, -v191
	v_fma_f16 v176, 0xb5c8, v2, v160
	v_add_f16_e64 v171, v172, v171
	v_fma_f16 v172, 0x3b76, v31, v182
	v_add_f16_e64 v177, v179, v177
	v_fma_f16 v179, 0x3a62, v0, v121
	v_mul_f16_e32 v115, 0xbacd, v115
	v_add_f16_e32 v75, v83, v75
	v_fmamk_f16 v82, v7, 0x3722, v84
	v_mul_f16_e32 v80, 0xbbf7, v122
	v_add_f16_e32 v39, v87, v39
	v_add_f16_e32 v74, v79, v74
	v_add_f16_e64 v76, v176, v159
	v_add_f16_e64 v159, v172, v171
	;; [unrolled: 1-line block ×3, first 2 shown]
	v_fmamk_f16 v81, v1, 0x3836, v115
	v_add_f16_e32 v75, v82, v75
	v_fmamk_f16 v79, v27, 0x2de8, v80
	v_mul_f16_e32 v82, 0xbbb2, v124
	v_mul_f16_e64 v83, 0xbbdd, v128
	v_add_f16_e32 v39, v92, v39
	v_add_f16_e32 v74, v77, v74
	v_add_f16_e64 v81, v81, v171
	v_add_f16_e32 v75, v79, v75
	v_fmamk_f16 v77, v4, 0xb461, v82
	v_mul_f16_e32 v79, 0xba62, v125
	v_add_f16_e32 v39, v90, v39
	v_add_f16_e32 v72, v72, v74
	v_fmamk_f16 v74, v2, 0x31e1, v83
	v_add_f16_e32 v75, v77, v75
	v_fmamk_f16 v77, v29, 0xb8d2, v79
	v_add_f16_e32 v39, v86, v39
	v_add_f16_e32 v72, v117, v72
	;; [unrolled: 1-line block ×3, first 2 shown]
	v_mul_f16_e32 v81, 0xb836, v126
	v_add_f16_e32 v75, v77, v75
	v_add_f16_e32 v39, v78, v39
	;; [unrolled: 1-line block ×3, first 2 shown]
	v_fmac_f16_e64 v136, 0xbb29, v15
	v_fmamk_f16 v77, v30, 0xbacd, v81
	v_mul_f16_e32 v78, 0xb1e1, v127
	v_add_f16_e32 v36, v36, v39
	v_add_f16_e32 v39, v71, v72
	v_add_f16_e64 v71, v14, v136
	v_fmac_f16_e64 v150, 0xba62, v8
	v_add_f16_e32 v72, v77, v75
	v_fmamk_f16 v75, v31, 0xbbdd, v78
	v_add_f16_e32 v36, v38, v36
	v_add_f16_e32 v38, v73, v39
	v_add_f16_e64 v39, v150, v71
	v_fmac_f16_e64 v144, 0x31e1, v9
	v_add_f16_e32 v71, v75, v72
	v_fma_f16 v72, v5, 0x3722, -v145
	v_add_f16_e32 v36, v37, v36
	v_add_f16_e32 v35, v35, v38
	v_add_f16_e64 v37, v144, v39
	v_fmac_f16_e64 v146, 0x3bb2, v10
	v_add_f16_e32 v38, v25, v72
	v_fma_f16 v39, v6, 0xb8d2, -v155
	;; [unrolled: 6-line block ×3, first 2 shown]
	v_add_f16_e32 v28, v28, v32
	v_add_f16_e32 v12, v13, v12
	v_add_f16_e64 v13, v142, v35
	v_fma_f16 v35, v27, 0xb461, -v158
	v_add_f16_e32 v32, v37, v36
	v_fmac_f16_e64 v157, 0xb964, v15
	v_add_f16_e32 v12, v33, v12
	v_fma_f16 v33, v4, 0x39e9, -v162
	v_fmac_f16_e64 v161, 0xbbf7, v8
	v_add_f16_e32 v32, v35, v32
	v_add_f16_e64 v35, v14, v157
	v_add_f16_e32 v12, v26, v12
	v_fmac_f16_e64 v164, 0xba62, v9
	v_fmac_f16_e64 v166, 0xb1e1, v10
	v_add_f16_e32 v26, v33, v32
	v_fma_f16 v32, v29, 0x3b76, -v165
	v_add_f16_e64 v33, v161, v35
	v_fma_f16 v35, v5, 0x39e9, -v169
	v_fma_f16 v36, v6, 0x2de8, -v173
	v_fmac_f16_e32 v88, 0xb5c8, v15
	v_add_f16_e32 v26, v32, v26
	v_fma_f16 v32, v30, 0x2de8, -v167
	v_add_f16_e64 v33, v164, v33
	v_add_f16_e32 v35, v25, v35
	v_fma_f16 v5, v5, 0x3b76, -v123
	v_fmac_f16_e64 v168, 0x3836, v11
	v_add_f16_e32 v26, v32, v26
	v_add_f16_e64 v32, v166, v33
	v_add_f16_e32 v33, v36, v35
	v_fma_f16 v35, v7, 0xb8d2, -v174
	v_add_f16_e32 v14, v14, v88
	v_fmac_f16_e32 v89, 0xb964, v8
	v_add_f16_e32 v5, v25, v5
	v_fma_f16 v6, v6, 0x39e9, -v118
	v_fma_f16 v36, v31, 0xbacd, -v151
	v_add_f16_e64 v15, v168, v32
	v_add_f16_e32 v32, v35, v33
	v_fma_f16 v33, v27, 0xbbdd, -v175
	v_add_f16_e32 v14, v89, v14
	v_fmac_f16_e32 v91, 0xbb29, v9
	v_add_f16_e32 v5, v6, v5
	v_fma_f16 v6, v7, 0x3722, -v84
	v_add_f16_e32 v8, v36, v26
	v_add_f16_e32 v26, v33, v32
	v_fma_f16 v9, v4, 0xbacd, -v178
	v_add_f16_e32 v14, v91, v14
	v_fmac_f16_e32 v93, 0xbbf7, v10
	v_add_f16_e32 v5, v6, v5
	v_fma_f16 v6, v27, 0x2de8, -v80
	v_add_f16_e32 v9, v9, v26
	v_fma_f16 v7, v29, 0xb461, -v180
	v_add_f16_e32 v10, v93, v14
	v_fmac_f16_e32 v120, 0xbbb2, v11
	v_add_f16_e32 v5, v6, v5
	v_fma_f16 v4, v4, 0xb461, -v82
	v_fmac_f16_e64 v147, 0xb5c8, v0
	v_fmac_f16_e64 v163, 0x3bb2, v0
	v_add_f16_e32 v7, v7, v9
	v_add_f16_e32 v9, v120, v10
	v_fmac_f16_e32 v121, 0xba62, v0
	v_fma_f16 v0, v30, 0x3722, -v181
	v_fmac_f16_e64 v148, 0xbbf7, v1
	v_fmac_f16_e64 v170, 0x3b29, v1
	v_fmac_f16_e32 v115, 0xb836, v1
	v_add_f16_e32 v1, v4, v5
	v_fma_f16 v4, v29, 0xb8d2, -v79
	v_add_f16_e32 v6, v121, v9
	v_add_f16_e32 v0, v0, v7
	v_and_b32_e32 v7, 0xffff, v68
	v_add_f16_e64 v15, v163, v15
	v_add_f16_e64 v184, v185, v184
	v_fma_f16 v185, v128, 0xb461, -v193
	v_add_f16_e64 v13, v147, v13
	v_fmac_f16_e64 v140, 0xb836, v2
	v_fmac_f16_e64 v160, 0x35c8, v2
	v_fmac_f16_e32 v83, 0xb1e1, v2
	v_add_f16_e32 v1, v4, v1
	v_fma_f16 v2, v30, 0xbacd, -v81
	v_add_f16_e64 v195, v197, v195
	v_fma_f16 v197, v128, 0x2de8, -v211
	v_fma_f16 v5, v31, 0x3b76, -v182
	v_add_f16_e32 v6, v115, v6
	v_mul_u32_u24_e32 v7, 51, v7
	v_add_f16_e64 v11, v170, v15
	v_add_f16_e64 v143, v185, v184
	v_add_f16_e64 v13, v148, v13
	v_add_f16_e32 v1, v2, v1
	v_fma_f16 v2, v31, 0xbbdd, -v78
	v_add_f16_e64 v137, v197, v195
	v_add_f16_e32 v0, v5, v0
	v_add_f16_e32 v5, v83, v6
	v_add_lshl_u32 v6, v7, v67, 2
	v_pack_b32_f16 v7, v28, v12
	v_pack_b32_f16 v9, v71, v74
	v_add_f16_e64 v4, v160, v11
	v_pack_b32_f16 v10, v159, v76
	v_pack_b32_f16 v11, v149, v139
	;; [unrolled: 1-line block ×4, first 2 shown]
	v_add_f16_e64 v13, v140, v13
	v_pack_b32_f16 v15, v154, v153
	v_pack_b32_f16 v25, v152, v143
	v_add_f16_e32 v1, v2, v1
	ds_store_2addr_b32 v6, v7, v9 offset1:3
	ds_store_2addr_b32 v6, v10, v11 offset0:6 offset1:9
	ds_store_2addr_b32 v6, v12, v14 offset0:12 offset1:15
	;; [unrolled: 1-line block ×3, first 2 shown]
	v_pack_b32_f16 v2, v141, v137
	v_pack_b32_f16 v7, v133, v131
	;; [unrolled: 1-line block ×9, first 2 shown]
	ds_store_2addr_b32 v6, v2, v7 offset0:24 offset1:27
	ds_store_2addr_b32 v6, v9, v10 offset0:30 offset1:33
	;; [unrolled: 1-line block ×4, first 2 shown]
	ds_store_b32 v6, v1 offset:192
.LBB0_21:
	s_wait_alu 0xfffe
	s_or_b32 exec_lo, exec_lo, s1
	global_wb scope:SCOPE_SE
	s_wait_dscnt 0x0
	s_barrier_signal -1
	s_barrier_wait -1
	global_inv scope:SCOPE_SE
	ds_load_2addr_b32 v[1:2], v41 offset1:51
	ds_load_2addr_b32 v[5:6], v41 offset0:102 offset1:153
	ds_load_2addr_b32 v[7:8], v41 offset0:204 offset1:255
	v_add_nc_u32_e32 v4, 0x400, v41
	v_add_nc_u32_e32 v0, 0x600, v41
	;; [unrolled: 1-line block ×3, first 2 shown]
	ds_load_2addr_b32 v[9:10], v4 offset0:50 offset1:101
	ds_load_2addr_b32 v[11:12], v4 offset0:152 offset1:203
	;; [unrolled: 1-line block ×4, first 2 shown]
	global_wb scope:SCOPE_SE
	s_wait_dscnt 0x0
	s_barrier_signal -1
	s_barrier_wait -1
	global_inv scope:SCOPE_SE
	s_mov_b32 s10, 0x16f26017
	s_mov_b32 s11, 0x3f56f260
	v_lshrrev_b32_e32 v15, 16, v1
	v_lshrrev_b32_e32 v27, 16, v5
	;; [unrolled: 1-line block ×3, first 2 shown]
	v_mul_f16_e32 v40, v110, v5
	v_mul_f16_e32 v68, v108, v7
	v_lshrrev_b32_e32 v32, 16, v9
	v_lshrrev_b32_e32 v33, 16, v11
	;; [unrolled: 1-line block ×3, first 2 shown]
	v_mul_f16_e32 v39, v110, v27
	v_mul_f16_e32 v67, v108, v28
	v_lshrrev_b32_e32 v30, 16, v6
	v_lshrrev_b32_e32 v35, 16, v25
	v_mul_f16_e32 v70, v102, v34
	v_fmac_f16_e32 v39, v16, v5
	v_fma_f16 v5, v16, v27, -v40
	v_fmac_f16_e32 v67, v17, v7
	v_fma_f16 v7, v17, v28, -v68
	v_mul_f16_e32 v27, v106, v32
	v_mul_f16_e32 v28, v106, v9
	;; [unrolled: 1-line block ×4, first 2 shown]
	v_lshrrev_b32_e32 v31, 16, v8
	v_lshrrev_b32_e32 v36, 16, v10
	v_lshrrev_b32_e32 v37, 16, v12
	v_fmac_f16_e32 v27, v18, v9
	v_fma_f16 v9, v18, v32, -v28
	v_fmac_f16_e32 v40, v19, v11
	v_fma_f16 v11, v19, v33, -v68
	v_fmac_f16_e32 v70, v23, v13
	v_mul_f16_e32 v13, v102, v13
	v_mul_f16_e32 v28, v101, v35
	v_mul_f16_e32 v32, v101, v25
	v_mul_f16_e32 v33, v110, v30
	v_mul_f16_e32 v68, v110, v6
	v_lshrrev_b32_e32 v38, 16, v14
	v_lshrrev_b32_e32 v69, 16, v26
	v_fma_f16 v13, v23, v34, -v13
	v_fmac_f16_e32 v28, v24, v25
	v_fma_f16 v25, v24, v35, -v32
	v_fmac_f16_e32 v33, v16, v6
	v_fma_f16 v6, v16, v30, -v68
	v_mul_f16_e32 v16, v108, v31
	v_mul_f16_e32 v30, v108, v8
	;; [unrolled: 1-line block ×5, first 2 shown]
	v_fmac_f16_e32 v16, v17, v8
	v_fma_f16 v8, v17, v31, -v30
	v_fmac_f16_e32 v32, v18, v10
	v_fma_f16 v10, v18, v36, -v34
	v_fmac_f16_e32 v35, v19, v12
	v_mul_f16_e32 v12, v104, v12
	v_mul_f16_e32 v17, v102, v38
	;; [unrolled: 1-line block ×5, first 2 shown]
	v_fma_f16 v12, v19, v37, -v12
	v_fmac_f16_e32 v17, v23, v14
	v_fma_f16 v14, v23, v38, -v18
	v_fmac_f16_e32 v30, v24, v26
	v_add_f16_e32 v19, v39, v28
	v_add_f16_e32 v23, v5, v25
	v_sub_f16_e32 v5, v5, v25
	v_add_f16_e32 v25, v67, v70
	v_add_f16_e32 v26, v7, v13
	v_fma_f16 v18, v24, v69, -v31
	v_sub_f16_e32 v24, v39, v28
	v_sub_f16_e32 v28, v67, v70
	;; [unrolled: 1-line block ×3, first 2 shown]
	v_add_f16_e32 v13, v27, v40
	v_add_f16_e32 v31, v9, v11
	v_sub_f16_e32 v27, v40, v27
	v_sub_f16_e32 v9, v11, v9
	v_add_f16_e32 v11, v25, v19
	v_add_f16_e32 v34, v26, v23
	v_sub_f16_e32 v36, v25, v19
	v_sub_f16_e32 v37, v26, v23
	;; [unrolled: 1-line block ×6, first 2 shown]
	v_add_f16_e32 v38, v27, v28
	v_add_f16_e32 v39, v9, v7
	v_sub_f16_e32 v40, v27, v28
	v_sub_f16_e32 v67, v9, v7
	;; [unrolled: 1-line block ×3, first 2 shown]
	v_add_f16_e32 v11, v13, v11
	v_add_f16_e32 v13, v31, v34
	v_sub_f16_e32 v7, v7, v5
	v_sub_f16_e32 v27, v24, v27
	;; [unrolled: 1-line block ×3, first 2 shown]
	v_add_f16_e32 v24, v38, v24
	v_add_f16_e32 v5, v39, v5
	;; [unrolled: 1-line block ×4, first 2 shown]
	v_mul_f16_e32 v19, 0x3a52, v19
	v_mul_f16_e32 v23, 0x3a52, v23
	;; [unrolled: 1-line block ×8, first 2 shown]
	v_fmamk_f16 v11, v11, 0xbcab, v1
	v_fmamk_f16 v13, v13, 0xbcab, v15
	;; [unrolled: 1-line block ×4, first 2 shown]
	v_fma_f16 v31, v36, 0x39e0, -v31
	v_fma_f16 v34, v37, 0x39e0, -v34
	;; [unrolled: 1-line block ×4, first 2 shown]
	v_fmamk_f16 v36, v27, 0xb574, v38
	v_fmamk_f16 v37, v9, 0xb574, v39
	v_fma_f16 v7, v7, 0xbb00, -v39
	v_fma_f16 v27, v27, 0x3574, -v40
	v_fma_f16 v9, v9, 0x3574, -v67
	v_fma_f16 v28, v28, 0xbb00, -v38
	v_add_f16_e32 v25, v25, v11
	v_add_f16_e32 v26, v26, v13
	v_add_f16_e32 v31, v31, v11
	v_add_f16_e32 v34, v34, v13
	v_add_f16_e32 v11, v19, v11
	v_add_f16_e32 v13, v23, v13
	v_fmac_f16_e32 v36, 0xb70e, v24
	v_fmac_f16_e32 v37, 0xb70e, v5
	;; [unrolled: 1-line block ×6, first 2 shown]
	v_add_f16_e32 v5, v37, v25
	v_sub_f16_e32 v19, v26, v36
	v_add_f16_e32 v23, v9, v11
	v_sub_f16_e32 v24, v13, v27
	v_sub_f16_e32 v38, v31, v7
	v_add_f16_e32 v7, v7, v31
	v_sub_f16_e32 v9, v11, v9
	v_add_f16_e32 v11, v27, v13
	;; [unrolled: 2-line block ×3, first 2 shown]
	v_add_f16_e32 v26, v33, v30
	v_add_f16_e32 v27, v6, v18
	v_sub_f16_e32 v6, v6, v18
	v_add_f16_e32 v18, v16, v17
	v_add_f16_e32 v31, v8, v14
	v_sub_f16_e32 v30, v33, v30
	v_sub_f16_e32 v16, v16, v17
	v_sub_f16_e32 v8, v8, v14
	v_add_f16_e32 v14, v32, v35
	v_add_f16_e32 v17, v10, v12
	v_sub_f16_e32 v32, v35, v32
	v_sub_f16_e32 v10, v12, v10
	v_add_f16_e32 v12, v18, v26
	v_add_f16_e32 v33, v31, v27
	v_lshrrev_b32_e32 v29, 16, v2
	v_add_f16_e32 v39, v28, v34
	v_sub_f16_e32 v28, v34, v28
	v_sub_f16_e32 v34, v18, v26
	;; [unrolled: 1-line block ×7, first 2 shown]
	v_add_f16_e32 v36, v32, v16
	v_add_f16_e32 v37, v10, v8
	v_sub_f16_e32 v40, v32, v16
	v_sub_f16_e32 v67, v10, v8
	;; [unrolled: 1-line block ×3, first 2 shown]
	v_add_f16_e32 v12, v14, v12
	v_add_f16_e32 v14, v17, v33
	v_sub_f16_e32 v8, v8, v6
	v_sub_f16_e32 v32, v30, v32
	;; [unrolled: 1-line block ×3, first 2 shown]
	v_add_f16_e32 v17, v36, v30
	v_add_f16_e32 v6, v37, v6
	;; [unrolled: 1-line block ×4, first 2 shown]
	v_mul_f16_e32 v26, 0x3a52, v26
	v_mul_f16_e32 v27, 0x3a52, v27
	v_mul_f16_e32 v30, 0x2b26, v18
	v_mul_f16_e32 v33, 0x2b26, v31
	v_mul_f16_e32 v36, 0x3846, v40
	v_mul_f16_e32 v37, 0x3846, v67
	v_mul_f16_e32 v40, 0xbb00, v16
	v_mul_f16_e32 v67, 0xbb00, v8
	v_fmamk_f16 v12, v12, 0xbcab, v2
	v_fmamk_f16 v14, v14, 0xbcab, v29
	;; [unrolled: 1-line block ×4, first 2 shown]
	v_fma_f16 v30, v34, 0x39e0, -v30
	v_fma_f16 v33, v35, 0x39e0, -v33
	;; [unrolled: 1-line block ×4, first 2 shown]
	v_fmamk_f16 v34, v32, 0xb574, v36
	v_fmamk_f16 v35, v10, 0xb574, v37
	v_fma_f16 v32, v32, 0x3574, -v40
	v_fma_f16 v10, v10, 0x3574, -v67
	;; [unrolled: 1-line block ×4, first 2 shown]
	v_add_f16_e32 v18, v18, v12
	v_add_f16_e32 v31, v31, v14
	;; [unrolled: 1-line block ×6, first 2 shown]
	v_fmac_f16_e32 v34, 0xb70e, v17
	v_fmac_f16_e32 v35, 0xb70e, v6
	;; [unrolled: 1-line block ×6, first 2 shown]
	v_pack_b32_f16 v1, v1, v15
	v_pack_b32_f16 v5, v5, v19
	;; [unrolled: 1-line block ×4, first 2 shown]
	v_add_f16_e32 v6, v35, v18
	v_sub_f16_e32 v17, v31, v34
	v_add_f16_e32 v26, v10, v12
	v_sub_f16_e32 v27, v14, v32
	v_sub_f16_e32 v36, v30, v8
	v_add_f16_e32 v37, v16, v33
	v_add_f16_e32 v8, v8, v30
	v_sub_f16_e32 v16, v33, v16
	v_sub_f16_e32 v10, v12, v10
	v_add_f16_e32 v12, v32, v14
	v_sub_f16_e32 v14, v18, v35
	v_add_f16_e32 v18, v34, v31
	ds_store_2addr_b32 v41, v1, v5 offset1:51
	ds_store_2addr_b32 v41, v15, v19 offset0:102 offset1:153
	v_pack_b32_f16 v1, v7, v28
	v_pack_b32_f16 v5, v9, v11
	;; [unrolled: 1-line block ×10, first 2 shown]
	ds_store_2addr_b32 v41, v1, v5 offset0:204 offset1:255
	ds_store_2addr_b32 v4, v7, v2 offset0:50 offset1:101
	;; [unrolled: 1-line block ×5, first 2 shown]
	global_wb scope:SCOPE_SE
	s_wait_dscnt 0x0
	s_barrier_signal -1
	s_barrier_wait -1
	global_inv scope:SCOPE_SE
	ds_load_2addr_b32 v[1:2], v41 offset1:51
	ds_load_2addr_b32 v[5:6], v4 offset0:50 offset1:101
	ds_load_2addr_b32 v[7:8], v4 offset0:152 offset1:203
	;; [unrolled: 1-line block ×6, first 2 shown]
	s_wait_dscnt 0x6
	v_lshrrev_b32_e32 v17, 16, v1
	s_wait_dscnt 0x5
	v_lshrrev_b32_e32 v18, 16, v6
	;; [unrolled: 2-line block ×3, first 2 shown]
	v_lshrrev_b32_e32 v25, 16, v8
	s_wait_dscnt 0x2
	v_lshrrev_b32_e32 v27, 16, v11
	v_mul_f16_e32 v33, v113, v6
	v_mul_f16_e32 v31, v113, v18
	;; [unrolled: 1-line block ×4, first 2 shown]
	v_lshrrev_b32_e32 v29, 16, v12
	s_wait_dscnt 0x0
	v_lshrrev_b32_e32 v32, 16, v15
	v_fmac_f16_e32 v31, v98, v6
	v_mul_f16_e32 v6, v112, v23
	v_fma_f16 v18, v98, v18, -v33
	v_mul_f16_e32 v33, v112, v7
	v_fmac_f16_e32 v36, v99, v8
	v_fma_f16 v8, v99, v25, -v37
	v_fmac_f16_e32 v6, v94, v7
	v_mul_f16_e32 v7, v109, v27
	v_mul_f16_e32 v25, v109, v11
	v_lshrrev_b32_e32 v35, 16, v16
	v_fma_f16 v23, v94, v23, -v33
	v_mul_f16_e32 v33, v107, v12
	v_fmac_f16_e32 v7, v95, v11
	v_mul_f16_e32 v11, v107, v29
	v_mul_f16_e32 v37, v105, v32
	v_lshrrev_b32_e32 v19, 16, v2
	v_fma_f16 v25, v95, v27, -v25
	v_mul_f16_e32 v27, v105, v15
	v_fmac_f16_e32 v11, v97, v12
	v_fma_f16 v12, v97, v29, -v33
	v_fmac_f16_e32 v37, v100, v15
	v_mul_f16_e32 v15, v103, v35
	v_mul_f16_e32 v29, v103, v16
	v_lshrrev_b32_e32 v24, 16, v9
	v_lshrrev_b32_e32 v26, 16, v10
	v_sub_f16_e32 v31, v1, v31
	v_sub_f16_e32 v18, v17, v18
	;; [unrolled: 1-line block ×4, first 2 shown]
	v_lshrrev_b32_e32 v28, 16, v13
	v_lshrrev_b32_e32 v30, 16, v14
	v_fma_f16 v27, v100, v32, -v27
	v_lshrrev_b32_e32 v34, 16, v5
	v_fmac_f16_e32 v15, v96, v16
	v_fma_f16 v16, v96, v35, -v29
	v_fma_f16 v1, v1, 2.0, -v31
	v_fma_f16 v17, v17, 2.0, -v18
	v_sub_f16_e32 v29, v9, v36
	v_sub_f16_e32 v8, v24, v8
	;; [unrolled: 1-line block ×4, first 2 shown]
	v_fma_f16 v2, v2, 2.0, -v6
	v_fma_f16 v19, v19, 2.0, -v23
	v_sub_f16_e32 v11, v13, v11
	v_sub_f16_e32 v12, v28, v12
	v_sub_f16_e32 v32, v14, v37
	v_sub_f16_e32 v27, v30, v27
	v_sub_f16_e32 v15, v5, v15
	v_sub_f16_e32 v16, v34, v16
	v_fma_f16 v9, v9, 2.0, -v29
	v_fma_f16 v24, v24, 2.0, -v8
	;; [unrolled: 1-line block ×4, first 2 shown]
	v_pack_b32_f16 v1, v1, v17
	v_pack_b32_f16 v17, v31, v18
	;; [unrolled: 1-line block ×5, first 2 shown]
	v_fma_f16 v13, v13, 2.0, -v11
	v_fma_f16 v28, v28, 2.0, -v12
	;; [unrolled: 1-line block ×6, first 2 shown]
	ds_store_b32 v41, v17 offset:1428
	ds_store_2addr_b32 v41, v1, v2 offset1:51
	v_pack_b32_f16 v1, v9, v24
	v_pack_b32_f16 v2, v10, v26
	ds_store_2addr_b32 v4, v6, v8 offset0:152 offset1:203
	v_pack_b32_f16 v6, v7, v25
	v_pack_b32_f16 v8, v11, v12
	v_pack_b32_f16 v7, v13, v28
	v_pack_b32_f16 v9, v14, v30
	v_pack_b32_f16 v5, v5, v18
	v_pack_b32_f16 v10, v32, v27
	v_pack_b32_f16 v11, v15, v16
	ds_store_2addr_b32 v41, v1, v2 offset0:102 offset1:153
	ds_store_2addr_b32 v0, v6, v8 offset0:126 offset1:177
	;; [unrolled: 1-line block ×3, first 2 shown]
	ds_store_b32 v41, v5 offset:1224
	ds_store_2addr_b32 v3, v10, v11 offset0:100 offset1:151
	global_wb scope:SCOPE_SE
	s_wait_dscnt 0x0
	s_barrier_signal -1
	s_barrier_wait -1
	global_inv scope:SCOPE_SE
	ds_load_2addr_b32 v[5:6], v41 offset1:51
	s_wait_dscnt 0x0
	v_lshrrev_b32_e32 v7, 16, v5
	s_delay_alu instid0(VALU_DEP_1) | instskip(NEXT) | instid1(VALU_DEP_1)
	v_mul_f16_e32 v1, v66, v7
	v_fmac_f16_e32 v1, v63, v5
	v_mul_f16_e32 v5, v66, v5
	s_delay_alu instid0(VALU_DEP_2) | instskip(NEXT) | instid1(VALU_DEP_2)
	v_cvt_f32_f16_e32 v1, v1
	v_fma_f16 v5, v63, v7, -v5
	s_delay_alu instid0(VALU_DEP_2) | instskip(NEXT) | instid1(VALU_DEP_2)
	v_cvt_f64_f32_e32 v[1:2], v1
	v_cvt_f32_f16_e32 v5, v5
	s_delay_alu instid0(VALU_DEP_1) | instskip(SKIP_1) | instid1(VALU_DEP_3)
	v_cvt_f64_f32_e32 v[7:8], v5
	s_wait_alu 0xfffe
	v_mul_f64_e32 v[9:10], s[10:11], v[1:2]
	v_add_nc_u32_e32 v1, 0x200, v41
	s_delay_alu instid0(VALU_DEP_3) | instskip(SKIP_3) | instid1(VALU_DEP_1)
	v_mul_f64_e32 v[7:8], s[10:11], v[7:8]
	ds_load_2addr_b32 v[1:2], v1 offset0:110 offset1:161
	s_wait_dscnt 0x0
	v_lshrrev_b32_e32 v5, 16, v1
	v_mul_f16_e32 v11, v65, v5
	s_delay_alu instid0(VALU_DEP_1)
	v_fmac_f16_e32 v11, v64, v1
	v_and_or_b32 v9, 0x1ff, v10, v9
	v_lshrrev_b32_e32 v12, 8, v10
	v_bfe_u32 v13, v10, 20, 11
	v_mul_f16_e32 v1, v65, v1
	v_cvt_f32_f16_e32 v11, v11
	v_cmp_ne_u32_e64 s0, 0, v9
	v_and_or_b32 v7, 0x1ff, v8, v7
	v_lshrrev_b32_e32 v16, 8, v8
	v_bfe_u32 v17, v8, 20, 11
	v_fma_f16 v1, v64, v5, -v1
	s_wait_alu 0xf1ff
	v_cndmask_b32_e64 v9, 0, 1, s0
	v_cmp_ne_u32_e64 s0, 0, v7
	v_add_nc_u32_e32 v24, 0xfffffc10, v13
	v_lshrrev_b32_e32 v10, 16, v10
	v_cvt_f32_f16_e32 v1, v1
	v_and_or_b32 v9, 0xffe, v12, v9
	v_sub_nc_u32_e32 v12, 0x3f1, v13
	s_wait_alu 0xf1ff
	v_cndmask_b32_e64 v7, 0, 1, s0
	s_delay_alu instid0(VALU_DEP_3) | instskip(NEXT) | instid1(VALU_DEP_3)
	v_or_b32_e32 v14, 0x1000, v9
	v_med3_i32 v15, v12, 0, 13
	s_delay_alu instid0(VALU_DEP_3) | instskip(SKIP_2) | instid1(VALU_DEP_4)
	v_and_or_b32 v7, 0xffe, v16, v7
	v_sub_nc_u32_e32 v16, 0x3f1, v17
	v_cvt_f64_f32_e32 v[11:12], v11
	v_lshrrev_b32_e32 v18, v15, v14
	s_delay_alu instid0(VALU_DEP_4) | instskip(NEXT) | instid1(VALU_DEP_2)
	v_or_b32_e32 v19, 0x1000, v7
	v_lshlrev_b32_e32 v5, v15, v18
	v_med3_i32 v15, v16, 0, 13
	s_delay_alu instid0(VALU_DEP_2) | instskip(NEXT) | instid1(VALU_DEP_2)
	v_cmp_ne_u32_e64 s0, v5, v14
	v_lshrrev_b32_e32 v23, v15, v19
	v_cvt_f64_f32_e32 v[13:14], v1
	s_wait_alu 0xf1ff
	s_delay_alu instid0(VALU_DEP_3) | instskip(NEXT) | instid1(VALU_DEP_3)
	v_cndmask_b32_e64 v5, 0, 1, s0
	v_lshlrev_b32_e32 v25, v15, v23
	v_cmp_gt_i32_e64 s0, 1, v24
	v_mad_co_u64_u32 v[15:16], null, s6, v22, 0
	s_delay_alu instid0(VALU_DEP_4) | instskip(SKIP_2) | instid1(VALU_DEP_1)
	v_or_b32_e32 v5, v18, v5
	v_lshl_or_b32 v18, v24, 12, v9
	s_wait_alu 0xf1ff
	v_cndmask_b32_e64 v18, v18, v5, s0
	v_cmp_ne_u32_e64 s0, v25, v19
	v_add_nc_u32_e32 v25, 0xfffffc10, v17
	v_mov_b32_e32 v5, v16
	s_delay_alu instid0(VALU_DEP_4) | instskip(SKIP_3) | instid1(VALU_DEP_3)
	v_and_b32_e32 v17, 7, v18
	s_wait_alu 0xf1ff
	v_cndmask_b32_e64 v19, 0, 1, s0
	v_cmp_gt_i32_e64 s2, 1, v25
	v_cmp_lt_i32_e64 s0, 5, v17
	s_delay_alu instid0(VALU_DEP_3) | instskip(SKIP_4) | instid1(VALU_DEP_3)
	v_or_b32_e32 v16, v23, v19
	v_lshl_or_b32 v19, v25, 12, v7
	v_cmp_eq_u32_e64 s1, 3, v17
	v_mul_f64_e32 v[11:12], s[10:11], v[11:12]
	s_wait_alu 0xf1ff
	v_cndmask_b32_e64 v19, v19, v16, s2
	v_mad_co_u64_u32 v[16:17], null, s7, v22, v[5:6]
	v_lshrrev_b32_e32 v5, 2, v18
	s_or_b32 s0, s1, s0
	s_delay_alu instid0(VALU_DEP_3)
	v_and_b32_e32 v17, 7, v19
	v_cmp_gt_i32_e64 s2, 31, v24
	v_mad_co_u64_u32 v[22:23], null, s4, v59, 0
	s_wait_alu 0xfffe
	v_add_co_ci_u32_e64 v5, s0, 0, v5, s0
	v_cmp_ne_u32_e64 s0, 0, v9
	v_cmp_eq_u32_e64 s1, 3, v17
	v_mul_f64_e32 v[13:14], s[10:11], v[13:14]
	s_wait_alu 0xf1ff
	v_cndmask_b32_e64 v5, 0x7c00, v5, s2
	v_lshlrev_b64_e32 v[15:16], 2, v[15:16]
	v_cndmask_b32_e64 v9, 0, 1, s0
	v_cmp_lt_i32_e64 s0, 5, v17
	v_lshrrev_b32_e32 v17, 2, v19
	s_delay_alu instid0(VALU_DEP_3) | instskip(NEXT) | instid1(VALU_DEP_3)
	v_lshl_or_b32 v9, v9, 9, 0x7c00
	s_or_b32 s0, s1, s0
	s_wait_alu 0xfffe
	s_delay_alu instid0(VALU_DEP_2) | instskip(SKIP_2) | instid1(VALU_DEP_1)
	v_add_co_ci_u32_e64 v19, s0, 0, v17, s0
	v_cmp_ne_u32_e64 s0, 0, v7
	s_wait_alu 0xf1ff
	v_cndmask_b32_e64 v7, 0, 1, s0
	v_cmp_gt_i32_e64 s0, 31, v25
	v_and_or_b32 v11, 0x1ff, v12, v11
	s_delay_alu instid0(VALU_DEP_3) | instskip(SKIP_1) | instid1(VALU_DEP_3)
	v_lshl_or_b32 v7, v7, 9, 0x7c00
	s_wait_alu 0xf1ff
	v_cndmask_b32_e64 v19, 0x7c00, v19, s0
	v_cmp_eq_u32_e64 s0, 0x40f, v24
	v_bfe_u32 v24, v12, 20, 11
	v_lshrrev_b32_e32 v29, 16, v12
	s_wait_alu 0xf1ff
	s_delay_alu instid0(VALU_DEP_3)
	v_cndmask_b32_e64 v9, v5, v9, s0
	v_mov_b32_e32 v5, v23
	ds_load_2addr_b32 v[0:1], v0 offset0:92 offset1:143
	v_cmp_eq_u32_e64 s0, 0x40f, v25
	v_lshrrev_b32_e32 v23, 8, v12
	v_lshrrev_b32_e32 v25, 16, v8
	v_and_or_b32 v9, 0x8000, v10, v9
	s_wait_alu 0xf1ff
	v_cndmask_b32_e64 v19, v19, v7, s0
	v_cmp_ne_u32_e64 s0, 0, v11
	v_mad_co_u64_u32 v[7:8], null, s5, v59, v[5:6]
	v_sub_nc_u32_e32 v8, 0x3f1, v24
	s_delay_alu instid0(VALU_DEP_4)
	v_and_or_b32 v10, 0x8000, v25, v19
	s_wait_alu 0xf1ff
	v_cndmask_b32_e64 v11, 0, 1, s0
	v_and_b32_e32 v9, 0xffff, v9
	v_bfe_u32 v27, v14, 20, 11
	v_med3_i32 v19, v8, 0, 13
	v_and_or_b32 v8, 0x1ff, v14, v13
	v_and_or_b32 v5, 0xffe, v23, v11
	v_mov_b32_e32 v23, v7
	s_wait_dscnt 0x0
	v_lshrrev_b32_e32 v26, 16, v0
	v_cmp_ne_u32_e64 s0, 0, v8
	v_or_b32_e32 v11, 0x1000, v5
	s_delay_alu instid0(VALU_DEP_3) | instskip(SKIP_1) | instid1(VALU_DEP_3)
	v_mul_f16_e32 v18, v62, v26
	s_wait_alu 0xf1ff
	v_cndmask_b32_e64 v25, 0, 1, s0
	s_delay_alu instid0(VALU_DEP_3) | instskip(NEXT) | instid1(VALU_DEP_3)
	v_lshrrev_b32_e32 v13, v19, v11
	v_fmac_f16_e32 v18, v60, v0
	v_mul_f16_e32 v0, v62, v0
	s_delay_alu instid0(VALU_DEP_2) | instskip(NEXT) | instid1(VALU_DEP_2)
	v_cvt_f32_f16_e32 v18, v18
	v_fma_f16 v0, v60, v26, -v0
	v_lshrrev_b32_e32 v26, 8, v14
	v_lshrrev_b32_e32 v14, 16, v14
	s_delay_alu instid0(VALU_DEP_4) | instskip(NEXT) | instid1(VALU_DEP_4)
	v_cvt_f64_f32_e32 v[17:18], v18
	v_cvt_f32_f16_e32 v0, v0
	s_delay_alu instid0(VALU_DEP_4) | instskip(NEXT) | instid1(VALU_DEP_3)
	v_and_or_b32 v25, 0xffe, v26, v25
	v_mul_f64_e32 v[7:8], s[10:11], v[17:18]
	v_lshlrev_b32_e32 v17, v19, v13
	v_lshl_or_b32 v19, v10, 16, v9
	v_cvt_f64_f32_e32 v[9:10], v0
	v_sub_nc_u32_e32 v18, 0x3f1, v27
	s_delay_alu instid0(VALU_DEP_4) | instskip(SKIP_2) | instid1(VALU_DEP_4)
	v_cmp_ne_u32_e64 s0, v17, v11
	v_add_nc_u32_e32 v11, 0xfffffc10, v24
	v_or_b32_e32 v24, 0x1000, v25
	v_med3_i32 v26, v18, 0, 13
	v_lshlrev_b64_e32 v[17:18], 2, v[22:23]
	s_wait_alu 0xf1ff
	v_cndmask_b32_e64 v0, 0, 1, s0
	v_add_co_u32 v15, s0, s8, v15
	s_wait_alu 0xf1ff
	v_add_co_ci_u32_e64 v16, s0, s9, v16, s0
	s_delay_alu instid0(VALU_DEP_3)
	v_or_b32_e32 v0, v13, v0
	v_lshl_or_b32 v13, v11, 12, v5
	v_lshrrev_b32_e32 v22, v26, v24
	v_cmp_gt_i32_e64 s0, 1, v11
	v_add_nc_u32_e32 v23, 0xfffffc10, v27
	s_wait_alu 0xf1ff
	s_delay_alu instid0(VALU_DEP_2) | instskip(SKIP_4) | instid1(VALU_DEP_3)
	v_cndmask_b32_e64 v0, v13, v0, s0
	v_lshlrev_b32_e32 v13, v26, v22
	v_add_co_u32 v15, s0, v15, v17
	s_wait_alu 0xf1ff
	v_add_co_ci_u32_e64 v16, s0, v16, v18, s0
	v_cmp_ne_u32_e64 s0, v13, v24
	v_and_b32_e32 v17, 7, v0
	v_lshrrev_b32_e32 v24, 16, v6
	v_cmp_gt_i32_e64 s2, 1, v23
	v_lshrrev_b32_e32 v0, 2, v0
	s_wait_alu 0xf1ff
	v_cndmask_b32_e64 v13, 0, 1, s0
	v_cmp_lt_i32_e64 s0, 5, v17
	v_cmp_eq_u32_e64 s1, 3, v17
	v_lshl_or_b32 v17, v23, 12, v25
	v_mul_f16_e32 v18, v61, v24
	v_or_b32_e32 v13, v22, v13
	v_mul_f64_e32 v[9:10], s[10:11], v[9:10]
	v_and_or_b32 v7, 0x1ff, v8, v7
	s_or_b32 s0, s1, s0
	v_fmac_f16_e32 v18, v57, v6
	v_cndmask_b32_e64 v13, v17, v13, s2
	s_wait_alu 0xfffe
	v_add_co_ci_u32_e64 v0, s0, 0, v0, s0
	v_cmp_ne_u32_e64 s2, 0, v7
	v_cmp_ne_u32_e64 s0, 0, v5
	v_and_b32_e32 v27, 7, v13
	v_lshrrev_b32_e32 v22, 8, v8
	v_cvt_f32_f16_e32 v17, v18
	s_wait_alu 0xf1ff
	v_cndmask_b32_e64 v7, 0, 1, s2
	v_bfe_u32 v26, v8, 20, 11
	v_cndmask_b32_e64 v5, 0, 1, s0
	v_cmp_lt_i32_e64 s0, 5, v27
	v_cmp_eq_u32_e64 s1, 3, v27
	v_lshrrev_b32_e32 v13, 2, v13
	v_cvt_f64_f32_e32 v[17:18], v17
	v_and_or_b32 v7, 0xffe, v22, v7
	v_sub_nc_u32_e32 v22, 0x3f1, v26
	v_cmp_gt_i32_e64 s2, 31, v11
	s_or_b32 s0, s1, s0
	v_lshl_or_b32 v5, v5, 9, 0x7c00
	s_wait_alu 0xfffe
	v_add_co_ci_u32_e64 v13, s0, 0, v13, s0
	v_or_b32_e32 v27, 0x1000, v7
	v_med3_i32 v22, v22, 0, 13
	v_cndmask_b32_e64 v0, 0x7c00, v0, s2
	v_cmp_eq_u32_e64 s0, 0x40f, v11
	v_mul_f16_e32 v6, v61, v6
	s_mul_u64 s[2:3], s[4:5], 0xee
	v_lshrrev_b32_e32 v28, v22, v27
	s_wait_alu 0xfffe
	s_lshl_b64 s[6:7], s[2:3], 2
	v_cndmask_b32_e64 v0, v0, v5, s0
	v_cmp_gt_i32_e64 s0, 31, v23
	v_fma_f16 v6, v57, v24, -v6
	v_lshlrev_b32_e32 v5, v22, v28
	v_and_or_b32 v9, 0x1ff, v10, v9
	v_add_nc_u32_e32 v22, 0xfffffc10, v26
	s_wait_alu 0xf1ff
	v_cndmask_b32_e64 v13, 0x7c00, v13, s0
	v_cmp_ne_u32_e64 s0, 0, v25
	v_and_or_b32 v0, 0x8000, v29, v0
	v_lshl_or_b32 v26, v22, 12, v7
	s_wait_alu 0xf1ff
	s_delay_alu instid0(VALU_DEP_3) | instskip(SKIP_2) | instid1(VALU_DEP_3)
	v_cndmask_b32_e64 v11, 0, 1, s0
	v_cmp_ne_u32_e64 s0, v5, v27
	v_and_b32_e32 v0, 0xffff, v0
	v_lshl_or_b32 v24, v11, 9, 0x7c00
	s_wait_alu 0xf1ff
	s_delay_alu instid0(VALU_DEP_3) | instskip(SKIP_2) | instid1(VALU_DEP_3)
	v_cndmask_b32_e64 v5, 0, 1, s0
	v_cmp_ne_u32_e64 s0, 0, v9
	v_cvt_f32_f16_e32 v11, v6
	v_or_b32_e32 v25, v28, v5
	s_wait_alu 0xf1ff
	s_delay_alu instid0(VALU_DEP_3)
	v_cndmask_b32_e64 v9, 0, 1, s0
	v_cmp_eq_u32_e64 s0, 0x40f, v23
	v_cvt_f64_f32_e32 v[11:12], v11
	v_mul_f64_e32 v[5:6], s[10:11], v[17:18]
	v_lshrrev_b32_e32 v17, 8, v10
	v_bfe_u32 v18, v10, 20, 11
	s_wait_alu 0xf1ff
	v_cndmask_b32_e64 v13, v13, v24, s0
	v_cmp_gt_i32_e64 s0, 1, v22
	v_lshrrev_b32_e32 v10, 16, v10
	v_and_or_b32 v9, 0xffe, v17, v9
	v_sub_nc_u32_e32 v17, 0x3f1, v18
	v_and_or_b32 v13, 0x8000, v14, v13
	s_wait_alu 0xf1ff
	v_cndmask_b32_e64 v23, v26, v25, s0
	v_or_b32_e32 v25, 0x1000, v9
	v_med3_i32 v17, v17, 0, 13
	v_lshl_or_b32 v0, v13, 16, v0
	s_delay_alu instid0(VALU_DEP_4)
	v_and_b32_e32 v24, 7, v23
	v_lshrrev_b32_e32 v13, 2, v23
	v_add_nc_u32_e32 v23, 0xfffffc10, v18
	v_lshrrev_b32_e32 v14, v17, v25
	v_lshrrev_b32_e32 v18, 16, v2
	v_cmp_lt_i32_e64 s0, 5, v24
	v_cmp_eq_u32_e64 s1, 3, v24
	s_delay_alu instid0(VALU_DEP_4) | instskip(NEXT) | instid1(VALU_DEP_2)
	v_lshlrev_b32_e32 v17, v17, v14
	s_or_b32 s0, s1, s0
	s_wait_alu 0xfffe
	v_add_co_ci_u32_e64 v13, s0, 0, v13, s0
	v_cmp_ne_u32_e64 s0, 0, v7
	s_wait_alu 0xf1ff
	s_delay_alu instid0(VALU_DEP_1)
	v_cndmask_b32_e64 v7, 0, 1, s0
	v_cmp_ne_u32_e64 s0, v17, v25
	v_lshrrev_b32_e32 v25, 16, v8
	v_mul_f64_e32 v[11:12], s[10:11], v[11:12]
	v_and_or_b32 v5, 0x1ff, v6, v5
	v_lshl_or_b32 v7, v7, 9, 0x7c00
	s_wait_alu 0xf1ff
	v_cndmask_b32_e64 v17, 0, 1, s0
	v_cmp_gt_i32_e64 s0, 31, v22
	v_bfe_u32 v24, v6, 20, 11
	s_delay_alu instid0(VALU_DEP_3) | instskip(SKIP_1) | instid1(VALU_DEP_3)
	v_or_b32_e32 v14, v14, v17
	s_wait_alu 0xf1ff
	v_cndmask_b32_e64 v13, 0x7c00, v13, s0
	v_cmp_eq_u32_e64 s0, 0x40f, v22
	v_lshl_or_b32 v17, v23, 12, v9
	v_sub_nc_u32_e32 v8, 0x3f1, v24
	v_add_nc_u32_e32 v24, 0xfffffc10, v24
	s_wait_alu 0xf1ff
	v_cndmask_b32_e64 v22, v13, v7, s0
	v_cmp_gt_i32_e64 s0, 1, v23
	v_mul_f16_e32 v7, v58, v18
	v_lshrrev_b32_e32 v13, 8, v6
	v_med3_i32 v27, v8, 0, 13
	v_and_or_b32 v22, 0x8000, v25, v22
	s_wait_alu 0xf1ff
	v_cndmask_b32_e64 v17, v17, v14, s0
	v_cmp_ne_u32_e64 s0, 0, v5
	v_fmac_f16_e32 v7, v56, v2
	v_mul_f16_e32 v2, v58, v2
	v_and_b32_e32 v22, 0xffff, v22
	v_and_b32_e32 v14, 7, v17
	s_wait_alu 0xf1ff
	v_cndmask_b32_e64 v5, 0, 1, s0
	v_lshrrev_b32_e32 v17, 2, v17
	v_cvt_f32_f16_e32 v7, v7
	v_fma_f16 v2, v56, v18, -v2
	v_cmp_lt_i32_e64 s0, 5, v14
	v_and_or_b32 v5, 0xffe, v13, v5
	v_cmp_eq_u32_e64 s1, 3, v14
	v_cvt_f64_f32_e32 v[7:8], v7
	v_cvt_f32_f16_e32 v2, v2
	v_add_co_u32 v13, s2, v15, s6
	v_or_b32_e32 v26, 0x1000, v5
	s_or_b32 s0, s1, s0
	v_and_or_b32 v11, 0x1ff, v12, v11
	s_wait_alu 0xfffe
	v_add_co_ci_u32_e64 v17, s0, 0, v17, s0
	v_lshrrev_b32_e32 v25, v27, v26
	v_cmp_ne_u32_e64 s0, 0, v9
	v_bfe_u32 v29, v12, 20, 11
	v_add_co_ci_u32_e64 v14, s2, s7, v16, s2
	s_delay_alu instid0(VALU_DEP_4)
	v_lshlrev_b32_e32 v27, v27, v25
	s_wait_alu 0xf1ff
	v_cndmask_b32_e64 v9, 0, 1, s0
	v_cmp_gt_i32_e64 s0, 31, v23
	s_clause 0x1
	global_store_b32 v[15:16], v19, off
	global_store_b32 v[13:14], v0, off
	v_add_nc_u32_e32 v15, 0xfffffc10, v29
	v_lshrrev_b32_e32 v16, 16, v1
	v_lshl_or_b32 v9, v9, 9, 0x7c00
	s_wait_alu 0xf1ff
	v_cndmask_b32_e64 v28, 0x7c00, v17, s0
	v_cmp_ne_u32_e64 s0, v27, v26
	v_lshrrev_b32_e32 v27, 8, v12
	v_cvt_f64_f32_e32 v[17:18], v2
	s_wait_alu 0xf1ff
	s_delay_alu instid0(VALU_DEP_3) | instskip(SKIP_2) | instid1(VALU_DEP_1)
	v_cndmask_b32_e64 v26, 0, 1, s0
	v_cmp_ne_u32_e64 s0, 0, v11
	s_wait_alu 0xf1ff
	v_cndmask_b32_e64 v11, 0, 1, s0
	v_cmp_eq_u32_e64 s0, 0x40f, v23
	v_or_b32_e32 v23, v25, v26
	v_lshl_or_b32 v25, v24, 12, v5
	s_delay_alu instid0(VALU_DEP_4)
	v_and_or_b32 v11, 0xffe, v27, v11
	s_wait_alu 0xf1ff
	v_cndmask_b32_e64 v2, v28, v9, s0
	v_cmp_gt_i32_e64 s0, 1, v24
	v_sub_nc_u32_e32 v9, 0x3f1, v29
	v_mul_f64_e32 v[7:8], s[10:11], v[7:8]
	v_or_b32_e32 v26, 0x1000, v11
	v_and_or_b32 v2, 0x8000, v10, v2
	s_wait_alu 0xf1ff
	v_cndmask_b32_e64 v23, v25, v23, s0
	v_med3_i32 v9, v9, 0, 13
	s_delay_alu instid0(VALU_DEP_3) | instskip(NEXT) | instid1(VALU_DEP_3)
	v_lshl_or_b32 v19, v2, 16, v22
	v_and_b32_e32 v25, 7, v23
	s_delay_alu instid0(VALU_DEP_3) | instskip(SKIP_2) | instid1(VALU_DEP_4)
	v_lshrrev_b32_e32 v10, v9, v26
	v_lshrrev_b32_e32 v2, 2, v23
	v_lshrrev_b32_e32 v22, 16, v6
	v_cmp_lt_i32_e64 s0, 5, v25
	v_cmp_eq_u32_e64 s1, 3, v25
	v_lshlrev_b32_e32 v0, v9, v10
	v_lshl_or_b32 v9, v15, 12, v11
	s_delay_alu instid0(VALU_DEP_3) | instskip(NEXT) | instid1(VALU_DEP_2)
	s_or_b32 s0, s1, s0
	v_cmp_ne_u32_e64 s2, v0, v26
	s_wait_alu 0xfffe
	v_add_co_ci_u32_e64 v2, s0, 0, v2, s0
	v_cmp_ne_u32_e64 s0, 0, v5
	s_wait_alu 0xf1ff
	v_cndmask_b32_e64 v0, 0, 1, s2
	s_delay_alu instid0(VALU_DEP_2) | instskip(SKIP_1) | instid1(VALU_DEP_3)
	v_cndmask_b32_e64 v5, 0, 1, s0
	v_cmp_gt_i32_e64 s0, 31, v24
	v_or_b32_e32 v0, v10, v0
	s_delay_alu instid0(VALU_DEP_3) | instskip(SKIP_1) | instid1(VALU_DEP_3)
	v_lshl_or_b32 v5, v5, 9, 0x7c00
	s_wait_alu 0xf1ff
	v_cndmask_b32_e64 v2, 0x7c00, v2, s0
	v_cmp_gt_i32_e64 s0, 1, v15
	s_wait_alu 0xf1ff
	s_delay_alu instid0(VALU_DEP_1)
	v_cndmask_b32_e64 v0, v9, v0, s0
	v_mul_f64_e32 v[9:10], s[10:11], v[17:18]
	v_mul_f16_e32 v17, v55, v16
	v_add_co_u32 v13, s0, v13, s6
	s_wait_alu 0xf1ff
	v_add_co_ci_u32_e64 v14, s0, s7, v14, s0
	v_cmp_eq_u32_e64 s0, 0x40f, v24
	v_fmac_f16_e32 v17, v54, v1
	v_and_b32_e32 v18, 7, v0
	v_lshrrev_b32_e32 v0, 2, v0
	v_mul_f16_e32 v1, v55, v1
	s_wait_alu 0xf1ff
	v_cndmask_b32_e64 v2, v2, v5, s0
	v_and_or_b32 v5, 0x1ff, v8, v7
	v_cvt_f32_f16_e32 v6, v17
	v_cmp_lt_i32_e64 s0, 5, v18
	v_cmp_eq_u32_e64 s1, 3, v18
	v_lshrrev_b32_e32 v17, 8, v8
	v_cmp_ne_u32_e64 s2, 0, v5
	v_cvt_f64_f32_e32 v[5:6], v6
	v_bfe_u32 v18, v8, 20, 11
	s_or_b32 s0, s1, s0
	v_fma_f16 v1, v54, v16, -v1
	v_cndmask_b32_e64 v7, 0, 1, s2
	s_wait_alu 0xfffe
	v_add_co_ci_u32_e64 v0, s0, 0, v0, s0
	v_cmp_ne_u32_e64 s0, 0, v11
	v_and_or_b32 v16, 0x8000, v22, v2
	v_and_or_b32 v7, 0xffe, v17, v7
	v_sub_nc_u32_e32 v17, 0x3f1, v18
	v_cvt_f32_f16_e32 v1, v1
	s_wait_alu 0xf1ff
	v_cndmask_b32_e64 v11, 0, 1, s0
	v_cmp_gt_i32_e64 s0, 31, v15
	v_or_b32_e32 v23, 0x1000, v7
	v_med3_i32 v17, v17, 0, 13
	v_add_nc_u32_e32 v18, 0xfffffc10, v18
	v_lshl_or_b32 v11, v11, 9, 0x7c00
	s_wait_alu 0xf1ff
	v_cndmask_b32_e64 v0, 0x7c00, v0, s0
	v_cmp_eq_u32_e64 s0, 0x40f, v15
	v_lshrrev_b32_e32 v15, v17, v23
	v_and_or_b32 v9, 0x1ff, v10, v9
	v_bfe_u32 v22, v10, 20, 11
	s_movk_i32 s2, 0xfe57
	s_wait_alu 0xf1ff
	v_cndmask_b32_e64 v0, v0, v11, s0
	v_lshrrev_b32_e32 v11, 16, v12
	v_lshlrev_b32_e32 v2, v17, v15
	v_cmp_ne_u32_e64 s0, 0, v9
	v_lshrrev_b32_e32 v17, 8, v10
	v_and_b32_e32 v16, 0xffff, v16
	v_and_or_b32 v0, 0x8000, v11, v0
	v_cvt_f64_f32_e32 v[11:12], v1
	s_wait_alu 0xf1ff
	v_cndmask_b32_e64 v9, 0, 1, s0
	v_cmp_ne_u32_e64 s0, v2, v23
	v_sub_nc_u32_e32 v2, 0x3f1, v22
	s_mov_b32 s3, -1
	v_lshl_or_b32 v26, v0, 16, v16
	v_and_or_b32 v9, 0xffe, v17, v9
	s_wait_alu 0xf1ff
	v_cndmask_b32_e64 v1, 0, 1, s0
	v_mul_f64_e32 v[5:6], s[10:11], v[5:6]
	v_lshl_or_b32 v17, v18, 12, v7
	v_cmp_gt_i32_e64 s0, 1, v18
	v_or_b32_e32 v23, 0x1000, v9
	v_or_b32_e32 v15, v15, v1
	v_med3_i32 v24, v2, 0, 13
	ds_load_2addr_b32 v[1:2], v41 offset0:102 offset1:153
	v_add_nc_u32_e32 v22, 0xfffffc10, v22
	v_lshrrev_b32_e32 v27, 16, v10
	s_wait_alu 0xf1ff
	v_cndmask_b32_e64 v17, v17, v15, s0
	v_lshrrev_b32_e32 v25, v24, v23
	s_wait_alu 0xfffe
	s_mul_u64 s[0:1], s[4:5], s[2:3]
	s_wait_alu 0xfffe
	s_lshl_b64 s[4:5], s[0:1], 2
	v_and_b32_e32 v0, 7, v17
	s_wait_alu 0xfffe
	v_add_co_u32 v15, s0, v13, s4
	v_lshlrev_b32_e32 v24, v24, v25
	s_wait_alu 0xf1ff
	v_add_co_ci_u32_e64 v16, s0, s5, v14, s0
	v_cmp_lt_i32_e64 s0, 5, v0
	v_cmp_eq_u32_e64 s1, 3, v0
	v_lshrrev_b32_e32 v0, 2, v17
	v_cmp_ne_u32_e64 s2, v24, v23
	v_lshl_or_b32 v24, v22, 12, v9
	s_delay_alu instid0(VALU_DEP_4)
	s_or_b32 s0, s1, s0
	s_wait_dscnt 0x0
	v_lshrrev_b32_e32 v23, 16, v1
	s_wait_alu 0xfffe
	v_add_co_ci_u32_e64 v0, s0, 0, v0, s0
	v_cndmask_b32_e64 v17, 0, 1, s2
	v_cmp_ne_u32_e64 s0, 0, v7
	v_mul_f64_e32 v[11:12], s[10:11], v[11:12]
	s_delay_alu instid0(VALU_DEP_3)
	v_or_b32_e32 v17, v25, v17
	v_mul_f16_e32 v25, v53, v23
	s_wait_alu 0xf1ff
	v_cndmask_b32_e64 v7, 0, 1, s0
	v_cmp_gt_i32_e64 s0, 1, v22
	v_and_or_b32 v5, 0x1ff, v6, v5
	v_fmac_f16_e32 v25, v52, v1
	s_delay_alu instid0(VALU_DEP_4)
	v_lshl_or_b32 v7, v7, 9, 0x7c00
	s_wait_alu 0xf1ff
	v_cndmask_b32_e64 v17, v24, v17, s0
	v_cmp_gt_i32_e64 s0, 31, v18
	v_cmp_ne_u32_e64 s1, 0, v5
	v_cvt_f32_f16_e32 v25, v25
	v_mul_f16_e32 v1, v53, v1
	v_and_b32_e32 v24, 7, v17
	s_wait_alu 0xf1ff
	v_cndmask_b32_e64 v0, 0x7c00, v0, s0
	v_cmp_eq_u32_e64 s0, 0x40f, v18
	v_lshrrev_b32_e32 v18, 16, v8
	v_cndmask_b32_e64 v5, 0, 1, s1
	v_cmp_eq_u32_e64 s1, 3, v24
	v_fma_f16 v1, v52, v23, -v1
	s_wait_alu 0xf1ff
	v_cndmask_b32_e64 v0, v0, v7, s0
	v_cvt_f64_f32_e32 v[7:8], v25
	v_cmp_lt_i32_e64 s0, 5, v24
	v_lshrrev_b32_e32 v25, 8, v6
	s_delay_alu instid0(VALU_DEP_4)
	v_and_or_b32 v18, 0x8000, v18, v0
	v_lshrrev_b32_e32 v0, 2, v17
	v_bfe_u32 v17, v6, 20, 11
	s_or_b32 s0, s1, s0
	v_and_or_b32 v24, 0xffe, v25, v5
	v_and_b32_e32 v18, 0xffff, v18
	s_wait_alu 0xfffe
	v_add_co_ci_u32_e64 v0, s0, 0, v0, s0
	v_cmp_ne_u32_e64 s0, 0, v9
	v_sub_nc_u32_e32 v5, 0x3f1, v17
	v_or_b32_e32 v25, 0x1000, v24
	v_and_or_b32 v11, 0x1ff, v12, v11
	v_add_nc_u32_e32 v17, 0xfffffc10, v17
	s_wait_alu 0xf1ff
	v_cndmask_b32_e64 v9, 0, 1, s0
	v_cmp_gt_i32_e64 s0, 31, v22
	v_med3_i32 v5, v5, 0, 13
	s_delay_alu instid0(VALU_DEP_3) | instskip(SKIP_1) | instid1(VALU_DEP_3)
	v_lshl_or_b32 v9, v9, 9, 0x7c00
	s_wait_alu 0xf1ff
	v_cndmask_b32_e64 v0, 0x7c00, v0, s0
	v_cmp_eq_u32_e64 s0, 0x40f, v22
	v_lshrrev_b32_e32 v23, v5, v25
	s_wait_alu 0xf1ff
	s_delay_alu instid0(VALU_DEP_2) | instskip(SKIP_1) | instid1(VALU_DEP_3)
	v_cndmask_b32_e64 v22, v0, v9, s0
	v_cvt_f32_f16_e32 v0, v1
	v_lshlrev_b32_e32 v1, v5, v23
	v_cmp_ne_u32_e64 s0, 0, v11
	v_bfe_u32 v11, v12, 20, 11
	v_and_or_b32 v22, 0x8000, v27, v22
	v_cvt_f64_f32_e32 v[9:10], v0
	v_lshrrev_b32_e32 v0, 8, v12
	s_wait_alu 0xf1ff
	v_cndmask_b32_e64 v5, 0, 1, s0
	v_cmp_ne_u32_e64 s0, v1, v25
	v_mul_f64_e32 v[7:8], s[10:11], v[7:8]
	v_lshl_or_b32 v18, v22, 16, v18
	v_lshrrev_b32_e32 v12, 16, v12
	v_and_or_b32 v28, 0xffe, v0, v5
	s_wait_alu 0xf1ff
	v_cndmask_b32_e64 v25, 0, 1, s0
	v_sub_nc_u32_e32 v5, 0x3f1, v11
	ds_load_2addr_b32 v[0:1], v4 offset0:84 offset1:135
	v_cmp_gt_i32_e64 s0, 1, v17
	s_clause 0x1
	global_store_b32 v[13:14], v19, off
	global_store_b32 v[15:16], v26, off
	v_or_b32_e32 v4, v23, v25
	v_lshl_or_b32 v23, v17, 12, v24
	v_or_b32_e32 v25, 0x1000, v28
	v_med3_i32 v5, v5, 0, 13
	v_add_nc_u32_e32 v11, 0xfffffc10, v11
	s_wait_alu 0xf1ff
	v_cndmask_b32_e64 v4, v23, v4, s0
	v_add_co_u32 v13, s0, v15, s6
	v_lshrrev_b32_e32 v23, v5, v25
	s_wait_alu 0xf1ff
	v_add_co_ci_u32_e64 v14, s0, s7, v16, s0
	v_and_b32_e32 v19, 7, v4
	s_delay_alu instid0(VALU_DEP_3)
	v_lshlrev_b32_e32 v5, v5, v23
	global_store_b32 v[13:14], v18, off
	v_cmp_lt_i32_e64 s0, 5, v19
	s_wait_dscnt 0x0
	v_lshrrev_b32_e32 v15, 16, v0
	v_cmp_ne_u32_e64 s1, v5, v25
	s_delay_alu instid0(VALU_DEP_2) | instskip(SKIP_1) | instid1(VALU_DEP_2)
	v_mul_f16_e32 v16, v51, v15
	s_wait_alu 0xf1ff
	v_cndmask_b32_e64 v5, 0, 1, s1
	v_cmp_eq_u32_e64 s1, 3, v19
	v_lshrrev_b32_e32 v19, 2, v4
	v_fmac_f16_e32 v16, v50, v0
	s_delay_alu instid0(VALU_DEP_4) | instskip(NEXT) | instid1(VALU_DEP_4)
	v_or_b32_e32 v22, v23, v5
	s_or_b32 s0, s1, s0
	v_mul_f64_e32 v[4:5], s[10:11], v[9:10]
	s_wait_alu 0xfffe
	v_add_co_ci_u32_e64 v9, s0, 0, v19, s0
	v_lshl_or_b32 v23, v11, 12, v28
	v_cmp_gt_i32_e64 s0, 1, v11
	v_and_or_b32 v7, 0x1ff, v8, v7
	v_cvt_f32_f16_e32 v10, v16
	v_bfe_u32 v25, v8, 20, 11
	v_mul_f16_e32 v0, v51, v0
	s_wait_alu 0xf1ff
	v_cndmask_b32_e64 v19, v23, v22, s0
	v_cmp_gt_i32_e64 s0, 31, v17
	v_lshrrev_b32_e32 v23, 8, v8
	v_lshrrev_b32_e32 v8, 16, v8
	v_fma_f16 v0, v50, v15, -v0
	v_and_b32_e32 v22, 7, v19
	s_wait_alu 0xf1ff
	v_cndmask_b32_e64 v16, 0x7c00, v9, s0
	v_cmp_ne_u32_e64 s0, 0, v7
	v_cvt_f64_f32_e32 v[9:10], v10
	v_lshrrev_b32_e32 v19, 2, v19
	v_cmp_eq_u32_e64 s1, 3, v22
	v_cvt_f32_f16_e32 v0, v0
	s_wait_alu 0xf1ff
	v_cndmask_b32_e64 v7, 0, 1, s0
	v_cmp_ne_u32_e64 s0, 0, v24
	s_delay_alu instid0(VALU_DEP_2) | instskip(SKIP_1) | instid1(VALU_DEP_2)
	v_and_or_b32 v23, 0xffe, v23, v7
	s_wait_alu 0xf1ff
	v_cndmask_b32_e64 v24, 0, 1, s0
	v_cmp_lt_i32_e64 s0, 5, v22
	v_sub_nc_u32_e32 v7, 0x3f1, v25
	v_add_nc_u32_e32 v25, 0xfffffc10, v25
	s_delay_alu instid0(VALU_DEP_4) | instskip(NEXT) | instid1(VALU_DEP_4)
	v_lshl_or_b32 v22, v24, 9, 0x7c00
	s_or_b32 s0, s1, s0
	v_or_b32_e32 v24, 0x1000, v23
	s_wait_alu 0xfffe
	v_add_co_ci_u32_e64 v19, s0, 0, v19, s0
	v_med3_i32 v7, v7, 0, 13
	v_cmp_eq_u32_e64 s0, 0x40f, v17
	v_and_or_b32 v4, 0x1ff, v5, v4
	v_bfe_u32 v27, v5, 20, 11
	s_delay_alu instid0(VALU_DEP_4)
	v_lshrrev_b32_e32 v17, v7, v24
	s_wait_alu 0xf1ff
	v_cndmask_b32_e64 v16, v16, v22, s0
	v_cmp_gt_i32_e64 s0, 31, v11
	v_lshrrev_b32_e32 v22, 16, v6
	v_lshlrev_b32_e32 v6, v7, v17
	s_wait_alu 0xf1ff
	s_delay_alu instid0(VALU_DEP_3) | instskip(SKIP_3) | instid1(VALU_DEP_2)
	v_cndmask_b32_e64 v19, 0x7c00, v19, s0
	v_cmp_ne_u32_e64 s0, 0, v28
	v_and_or_b32 v16, 0x8000, v22, v16
	s_wait_alu 0xf1ff
	v_cndmask_b32_e64 v26, 0, 1, s0
	v_cmp_ne_u32_e64 s0, v6, v24
	v_lshrrev_b32_e32 v24, 8, v5
	v_mul_f64_e32 v[6:7], s[10:11], v[9:10]
	v_cvt_f64_f32_e32 v[9:10], v0
	v_and_b32_e32 v16, 0xffff, v16
	s_wait_alu 0xf1ff
	v_cndmask_b32_e64 v15, 0, 1, s0
	v_cmp_ne_u32_e64 s0, 0, v4
	s_delay_alu instid0(VALU_DEP_2) | instskip(SKIP_1) | instid1(VALU_DEP_2)
	v_or_b32_e32 v15, v17, v15
	s_wait_alu 0xf1ff
	v_cndmask_b32_e64 v4, 0, 1, s0
	v_cmp_eq_u32_e64 s0, 0x40f, v11
	v_lshl_or_b32 v17, v25, 12, v23
	s_delay_alu instid0(VALU_DEP_3) | instskip(SKIP_2) | instid1(VALU_DEP_3)
	v_and_or_b32 v0, 0xffe, v24, v4
	v_lshl_or_b32 v24, v26, 9, 0x7c00
	v_sub_nc_u32_e32 v4, 0x3f1, v27
	v_or_b32_e32 v26, 0x1000, v0
	s_wait_alu 0xf1ff
	s_delay_alu instid0(VALU_DEP_3)
	v_cndmask_b32_e64 v11, v19, v24, s0
	v_cmp_gt_i32_e64 s0, 1, v25
	v_med3_i32 v28, v4, 0, 13
	ds_load_2addr_b32 v[3:4], v3 offset0:66 offset1:117
	v_and_or_b32 v18, 0x8000, v12, v11
	s_wait_alu 0xf1ff
	v_cndmask_b32_e64 v15, v17, v15, s0
	v_lshrrev_b32_e32 v17, v28, v26
	s_delay_alu instid0(VALU_DEP_3) | instskip(NEXT) | instid1(VALU_DEP_3)
	v_lshl_or_b32 v18, v18, 16, v16
	v_and_b32_e32 v19, 7, v15
	s_delay_alu instid0(VALU_DEP_3) | instskip(SKIP_2) | instid1(VALU_DEP_4)
	v_lshlrev_b32_e32 v11, v28, v17
	v_lshrrev_b32_e32 v12, 2, v15
	v_add_nc_u32_e32 v15, 0xfffffc10, v27
	v_cmp_lt_i32_e64 s0, 5, v19
	v_cmp_eq_u32_e64 s1, 3, v19
	v_cmp_ne_u32_e64 s2, v11, v26
	v_mul_f64_e32 v[9:10], s[10:11], v[9:10]
	v_and_or_b32 v6, 0x1ff, v7, v6
	v_lshrrev_b32_e32 v24, 8, v7
	s_or_b32 s0, s1, s0
	v_cndmask_b32_e64 v11, 0, 1, s2
	s_wait_alu 0xfffe
	v_add_co_ci_u32_e64 v12, s0, 0, v12, s0
	v_cmp_ne_u32_e64 s0, 0, v23
	s_wait_dscnt 0x0
	v_lshrrev_b32_e32 v22, 16, v3
	v_or_b32_e32 v11, v17, v11
	v_lshl_or_b32 v17, v15, 12, v0
	v_bfe_u32 v26, v7, 20, 11
	s_wait_alu 0xf1ff
	v_cndmask_b32_e64 v19, 0, 1, s0
	v_cmp_gt_i32_e64 s0, 1, v15
	v_cmp_eq_u32_e64 s2, 0x40f, v25
	v_lshrrev_b32_e32 v7, 16, v7
	s_delay_alu instid0(VALU_DEP_4) | instskip(SKIP_4) | instid1(VALU_DEP_2)
	v_lshl_or_b32 v19, v19, 9, 0x7c00
	s_wait_alu 0xf1ff
	v_cndmask_b32_e64 v17, v17, v11, s0
	v_mul_f16_e32 v11, v49, v22
	v_cmp_gt_i32_e64 s0, 31, v25
	v_fmac_f16_e32 v11, v48, v3
	s_wait_alu 0xf1ff
	s_delay_alu instid0(VALU_DEP_2)
	v_cndmask_b32_e64 v23, 0x7c00, v12, s0
	v_cmp_ne_u32_e64 s0, 0, v6
	v_and_b32_e32 v12, 7, v17
	v_lshrrev_b32_e32 v17, 2, v17
	v_cvt_f32_f16_e32 v11, v11
	v_cndmask_b32_e64 v19, v23, v19, s2
	s_wait_alu 0xf1ff
	v_cndmask_b32_e64 v6, 0, 1, s0
	v_cmp_lt_i32_e64 s0, 5, v12
	v_cmp_eq_u32_e64 s1, 3, v12
	v_cvt_f64_f32_e32 v[11:12], v11
	v_mul_f16_e32 v3, v49, v3
	v_and_or_b32 v24, 0xffe, v24, v6
	v_sub_nc_u32_e32 v6, 0x3f1, v26
	s_or_b32 s0, s1, s0
	v_and_or_b32 v19, 0x8000, v8, v19
	s_wait_alu 0xfffe
	v_add_co_ci_u32_e64 v17, s0, 0, v17, s0
	v_or_b32_e32 v23, 0x1000, v24
	v_med3_i32 v6, v6, 0, 13
	v_cmp_ne_u32_e64 s0, 0, v0
	v_fma_f16 v3, v48, v22, -v3
	v_and_or_b32 v8, 0x1ff, v10, v9
	v_lshrrev_b32_e32 v22, 8, v10
	v_lshrrev_b32_e32 v25, v6, v23
	s_wait_alu 0xf1ff
	v_cndmask_b32_e64 v0, 0, 1, s0
	v_cmp_gt_i32_e64 s0, 31, v15
	v_cvt_f32_f16_e32 v3, v3
	v_and_b32_e32 v16, 0xffff, v19
	v_lshlrev_b32_e32 v6, v6, v25
	v_lshl_or_b32 v0, v0, 9, 0x7c00
	s_wait_alu 0xf1ff
	v_cndmask_b32_e64 v17, 0x7c00, v17, s0
	v_cmp_eq_u32_e64 s0, 0x40f, v15
	s_wait_alu 0xf1ff
	s_delay_alu instid0(VALU_DEP_1)
	v_cndmask_b32_e64 v0, v17, v0, s0
	v_cmp_ne_u32_e64 s0, v6, v23
	v_add_nc_u32_e32 v17, 0xfffffc10, v26
	v_bfe_u32 v23, v10, 20, 11
	v_lshrrev_b32_e32 v10, 16, v10
	s_wait_alu 0xf1ff
	v_cndmask_b32_e64 v6, 0, 1, s0
	v_cmp_ne_u32_e64 s0, 0, v8
	v_cvt_f64_f32_e32 v[8:9], v3
	s_delay_alu instid0(VALU_DEP_3) | instskip(SKIP_1) | instid1(VALU_DEP_3)
	v_or_b32_e32 v3, v25, v6
	s_wait_alu 0xf1ff
	v_cndmask_b32_e64 v15, 0, 1, s0
	v_lshl_or_b32 v6, v17, 12, v24
	v_cmp_gt_i32_e64 s0, 1, v17
	v_lshrrev_b32_e32 v25, 16, v5
	s_delay_alu instid0(VALU_DEP_4)
	v_and_or_b32 v22, 0xffe, v22, v15
	v_sub_nc_u32_e32 v15, 0x3f1, v23
	s_wait_alu 0xf1ff
	v_cndmask_b32_e64 v3, v6, v3, s0
	v_mul_f64_e32 v[5:6], s[10:11], v[11:12]
	v_and_or_b32 v0, 0x8000, v25, v0
	v_or_b32_e32 v26, 0x1000, v22
	v_med3_i32 v15, v15, 0, 13
	v_and_b32_e32 v19, 7, v3
	v_add_co_u32 v11, s0, v13, s6
	s_wait_alu 0xf1ff
	v_add_co_ci_u32_e64 v12, s0, s7, v14, s0
	v_lshrrev_b32_e32 v25, v15, v26
	v_cmp_lt_i32_e64 s0, 5, v19
	v_cmp_eq_u32_e64 s1, 3, v19
	v_lshrrev_b32_e32 v3, 2, v3
	v_lshrrev_b32_e32 v19, 16, v2
	v_lshlrev_b32_e32 v13, v15, v25
	v_add_nc_u32_e32 v23, 0xfffffc10, v23
	s_or_b32 s0, s1, s0
	v_lshl_or_b32 v0, v0, 16, v16
	s_wait_alu 0xfffe
	v_add_co_ci_u32_e64 v3, s0, 0, v3, s0
	v_cmp_ne_u32_e64 s2, v13, v26
	v_mul_f16_e32 v14, v47, v19
	v_cmp_ne_u32_e64 s0, 0, v24
	v_lshl_or_b32 v15, v23, 12, v22
	s_wait_alu 0xf1ff
	v_cndmask_b32_e64 v13, 0, 1, s2
	v_fmac_f16_e32 v14, v46, v2
	v_cndmask_b32_e64 v16, 0, 1, s0
	v_mul_f64_e32 v[8:9], s[10:11], v[8:9]
	v_cmp_gt_i32_e64 s0, 1, v23
	v_or_b32_e32 v13, v25, v13
	s_delay_alu instid0(VALU_DEP_4) | instskip(SKIP_1) | instid1(VALU_DEP_2)
	v_lshl_or_b32 v25, v16, 9, 0x7c00
	s_wait_alu 0xf1ff
	v_cndmask_b32_e64 v24, v15, v13, s0
	v_cvt_f32_f16_e32 v13, v14
	v_cmp_gt_i32_e64 s0, 31, v17
	v_and_or_b32 v5, 0x1ff, v6, v5
	s_delay_alu instid0(VALU_DEP_4) | instskip(NEXT) | instid1(VALU_DEP_4)
	v_and_b32_e32 v26, 7, v24
	v_cvt_f64_f32_e32 v[13:14], v13
	s_wait_alu 0xf1ff
	v_cndmask_b32_e64 v3, 0x7c00, v3, s0
	v_add_co_u32 v15, s0, v11, s4
	s_wait_alu 0xf1ff
	v_add_co_ci_u32_e64 v16, s0, s5, v12, s0
	v_cmp_eq_u32_e64 s0, 0x40f, v17
	v_cmp_ne_u32_e64 s1, 0, v5
	v_lshrrev_b32_e32 v24, 2, v24
	v_lshrrev_b32_e32 v17, 8, v6
	global_store_b32 v[11:12], v18, off
	global_store_b32 v[15:16], v0, off
	s_wait_alu 0xf1ff
	v_cndmask_b32_e64 v3, v3, v25, s0
	v_cmp_lt_i32_e64 s0, 5, v26
	v_cndmask_b32_e64 v5, 0, 1, s1
	v_cmp_eq_u32_e64 s1, 3, v26
	v_bfe_u32 v25, v6, 20, 11
	v_and_or_b32 v27, 0x8000, v7, v3
	v_lshrrev_b32_e32 v6, 16, v6
	v_and_or_b32 v5, 0xffe, v17, v5
	s_or_b32 s0, s1, s0
	v_sub_nc_u32_e32 v17, 0x3f1, v25
	s_wait_alu 0xfffe
	v_add_co_ci_u32_e64 v24, s0, 0, v24, s0
	v_cmp_ne_u32_e64 s0, 0, v22
	v_or_b32_e32 v26, 0x1000, v5
	v_med3_i32 v17, v17, 0, 13
	v_and_or_b32 v3, 0x1ff, v9, v8
	v_bfe_u32 v28, v9, 20, 11
	s_wait_alu 0xf1ff
	v_cndmask_b32_e64 v22, 0, 1, s0
	v_cmp_gt_i32_e64 s0, 31, v23
	v_lshrrev_b32_e32 v7, v17, v26
	s_delay_alu instid0(VALU_DEP_3) | instskip(SKIP_1) | instid1(VALU_DEP_3)
	v_lshl_or_b32 v22, v22, 9, 0x7c00
	s_wait_alu 0xf1ff
	v_cndmask_b32_e64 v24, 0x7c00, v24, s0
	v_cmp_eq_u32_e64 s0, 0x40f, v23
	v_lshlrev_b32_e32 v8, v17, v7
	v_mul_f16_e32 v17, v47, v2
	s_wait_alu 0xf1ff
	s_delay_alu instid0(VALU_DEP_3)
	v_cndmask_b32_e64 v22, v24, v22, s0
	v_cmp_ne_u32_e64 s0, 0, v3
	v_lshrrev_b32_e32 v24, 8, v9
	v_mul_f64_e32 v[2:3], s[10:11], v[13:14]
	v_fma_f16 v13, v46, v19, -v17
	v_add_nc_u32_e32 v14, 0xfffffc10, v25
	s_wait_alu 0xf1ff
	v_cndmask_b32_e64 v23, 0, 1, s0
	v_cmp_ne_u32_e64 s0, v8, v26
	v_sub_nc_u32_e32 v19, 0x3f1, v28
	v_cvt_f32_f16_e32 v13, v13
	v_and_or_b32 v10, 0x8000, v10, v22
	v_and_or_b32 v17, 0xffe, v24, v23
	s_wait_alu 0xf1ff
	v_cndmask_b32_e64 v8, 0, 1, s0
	v_lshl_or_b32 v24, v14, 12, v5
	v_cmp_gt_i32_e64 s0, 1, v14
	v_cmp_eq_u32_e64 s2, 0x40f, v14
	v_or_b32_e32 v25, 0x1000, v17
	v_or_b32_e32 v23, v7, v8
	v_cvt_f64_f32_e32 v[7:8], v13
	v_med3_i32 v13, v19, 0, 13
	v_and_b32_e32 v19, 0xffff, v27
	v_lshrrev_b32_e32 v9, 16, v9
	s_wait_alu 0xf1ff
	v_cndmask_b32_e64 v22, v24, v23, s0
	v_lshrrev_b32_e32 v23, v13, v25
	v_lshl_or_b32 v18, v10, 16, v19
	v_add_co_u32 v10, s0, v15, s6
	s_delay_alu instid0(VALU_DEP_4) | instskip(NEXT) | instid1(VALU_DEP_4)
	v_and_b32_e32 v0, 7, v22
	v_lshlrev_b32_e32 v12, v13, v23
	s_wait_alu 0xf1ff
	v_add_co_ci_u32_e64 v11, s0, s7, v16, s0
	v_lshrrev_b32_e32 v15, 16, v1
	v_cmp_lt_i32_e64 s0, 5, v0
	v_cmp_ne_u32_e64 s1, v12, v25
	v_add_nc_u32_e32 v16, 0xfffffc10, v28
	s_delay_alu instid0(VALU_DEP_4) | instskip(SKIP_1) | instid1(VALU_DEP_3)
	v_mul_f16_e32 v13, v45, v15
	s_wait_alu 0xf1ff
	v_cndmask_b32_e64 v12, 0, 1, s1
	v_cmp_eq_u32_e64 s1, 3, v0
	v_lshrrev_b32_e32 v0, 2, v22
	v_lshl_or_b32 v19, v16, 12, v17
	v_and_or_b32 v2, 0x1ff, v3, v2
	v_or_b32_e32 v12, v23, v12
	s_or_b32 s0, s1, s0
	v_fmac_f16_e32 v13, v44, v1
	s_wait_alu 0xfffe
	v_add_co_ci_u32_e64 v0, s0, 0, v0, s0
	v_cmp_gt_i32_e64 s0, 1, v16
	v_lshrrev_b32_e32 v22, 8, v3
	v_cvt_f32_f16_e32 v13, v13
	v_bfe_u32 v23, v3, 20, 11
	s_wait_alu 0xf1ff
	v_cndmask_b32_e64 v19, v19, v12, s0
	v_cmp_ne_u32_e64 s0, 0, v2
	v_cvt_f64_f32_e32 v[12:13], v13
	v_mul_f64_e32 v[7:8], s[10:11], v[7:8]
	s_delay_alu instid0(VALU_DEP_4)
	v_and_b32_e32 v24, 7, v19
	s_wait_alu 0xf1ff
	v_cndmask_b32_e64 v2, 0, 1, s0
	v_cmp_ne_u32_e64 s0, 0, v5
	v_lshrrev_b32_e32 v19, 2, v19
	v_cmp_eq_u32_e64 s1, 3, v24
	s_delay_alu instid0(VALU_DEP_4)
	v_and_or_b32 v2, 0xffe, v22, v2
	s_wait_alu 0xf1ff
	v_cndmask_b32_e64 v5, 0, 1, s0
	v_cmp_gt_i32_e64 s0, 31, v14
	v_sub_nc_u32_e32 v22, 0x3f1, v23
	v_add_nc_u32_e32 v23, 0xfffffc10, v23
	v_or_b32_e32 v25, 0x1000, v2
	v_lshl_or_b32 v5, v5, 9, 0x7c00
	s_wait_alu 0xf1ff
	v_cndmask_b32_e64 v0, 0x7c00, v0, s0
	v_cmp_lt_i32_e64 s0, 5, v24
	v_med3_i32 v22, v22, 0, 13
	s_delay_alu instid0(VALU_DEP_3) | instskip(NEXT) | instid1(VALU_DEP_3)
	v_cndmask_b32_e64 v0, v0, v5, s2
	s_or_b32 s0, s1, s0
	s_delay_alu instid0(VALU_DEP_2) | instskip(SKIP_3) | instid1(VALU_DEP_3)
	v_lshrrev_b32_e32 v5, v22, v25
	s_wait_alu 0xfffe
	v_add_co_ci_u32_e64 v14, s0, 0, v19, s0
	v_cmp_ne_u32_e64 s0, 0, v17
	v_lshlrev_b32_e32 v19, v22, v5
	v_and_or_b32 v22, 0x8000, v6, v0
	s_wait_alu 0xf1ff
	s_delay_alu instid0(VALU_DEP_3) | instskip(SKIP_1) | instid1(VALU_DEP_2)
	v_cndmask_b32_e64 v17, 0, 1, s0
	v_cmp_gt_i32_e64 s0, 31, v16
	v_lshl_or_b32 v17, v17, 9, 0x7c00
	s_wait_alu 0xf1ff
	s_delay_alu instid0(VALU_DEP_2) | instskip(SKIP_3) | instid1(VALU_DEP_2)
	v_cndmask_b32_e64 v14, 0x7c00, v14, s0
	v_cmp_ne_u32_e64 s0, v19, v25
	v_and_or_b32 v7, 0x1ff, v8, v7
	s_wait_alu 0xf1ff
	v_cndmask_b32_e64 v19, 0, 1, s0
	v_cmp_eq_u32_e64 s0, 0x40f, v16
	s_delay_alu instid0(VALU_DEP_2) | instskip(SKIP_1) | instid1(VALU_DEP_2)
	v_or_b32_e32 v5, v5, v19
	s_wait_alu 0xf1ff
	v_cndmask_b32_e64 v6, v14, v17, s0
	v_mul_f16_e32 v14, v45, v1
	v_mul_f64_e32 v[0:1], s[10:11], v[12:13]
	v_lshl_or_b32 v12, v23, 12, v2
	v_cmp_gt_i32_e64 s0, 1, v23
	v_and_or_b32 v9, 0x8000, v9, v6
	v_fma_f16 v13, v44, v15, -v14
	v_bfe_u32 v14, v8, 20, 11
	v_lshrrev_b32_e32 v17, 16, v4
	s_wait_alu 0xf1ff
	v_cndmask_b32_e64 v12, v12, v5, s0
	v_cmp_ne_u32_e64 s0, 0, v7
	v_cvt_f32_f16_e32 v5, v13
	v_lshrrev_b32_e32 v13, 8, v8
	v_lshrrev_b32_e32 v8, 16, v8
	v_and_b32_e32 v15, 7, v12
	s_wait_alu 0xf1ff
	v_cndmask_b32_e64 v7, 0, 1, s0
	v_cvt_f64_f32_e32 v[5:6], v5
	v_lshrrev_b32_e32 v12, 2, v12
	v_cmp_lt_i32_e64 s0, 5, v15
	s_delay_alu instid0(VALU_DEP_4)
	v_and_or_b32 v16, 0xffe, v13, v7
	v_sub_nc_u32_e32 v7, 0x3f1, v14
	v_cmp_eq_u32_e64 s1, 3, v15
	v_and_b32_e32 v13, 0xffff, v22
	v_mul_f16_e32 v22, v43, v17
	v_or_b32_e32 v19, 0x1000, v16
	v_med3_i32 v7, v7, 0, 13
	s_or_b32 s0, s1, s0
	v_lshl_or_b32 v9, v9, 16, v13
	s_wait_alu 0xfffe
	v_add_co_ci_u32_e64 v12, s0, 0, v12, s0
	v_lshrrev_b32_e32 v15, v7, v19
	v_fmac_f16_e32 v22, v42, v4
	v_cmp_ne_u32_e64 s0, 0, v2
	v_add_nc_u32_e32 v14, 0xfffffc10, v14
	v_mul_f16_e32 v4, v43, v4
	v_lshlrev_b32_e32 v7, v7, v15
	v_cvt_f32_f16_e32 v13, v22
	s_wait_alu 0xf1ff
	v_cndmask_b32_e64 v2, 0, 1, s0
	v_cmp_gt_i32_e64 s0, 31, v23
	v_and_or_b32 v0, 0x1ff, v1, v0
	v_lshl_or_b32 v24, v14, 12, v16
	v_fma_f16 v17, v42, v17, -v4
	v_lshl_or_b32 v2, v2, 9, 0x7c00
	s_wait_alu 0xf1ff
	v_cndmask_b32_e64 v22, 0x7c00, v12, s0
	v_cvt_f64_f32_e32 v[12:13], v13
	v_cmp_ne_u32_e64 s0, v7, v19
	v_lshrrev_b32_e32 v19, 8, v1
	v_cvt_f32_f16_e32 v17, v17
	s_wait_alu 0xf1ff
	s_delay_alu instid0(VALU_DEP_3) | instskip(SKIP_2) | instid1(VALU_DEP_3)
	v_cndmask_b32_e64 v7, 0, 1, s0
	v_cmp_ne_u32_e64 s0, 0, v0
	v_mul_f64_e32 v[4:5], s[10:11], v[5:6]
	v_or_b32_e32 v7, v15, v7
	s_wait_alu 0xf1ff
	s_delay_alu instid0(VALU_DEP_3) | instskip(SKIP_3) | instid1(VALU_DEP_4)
	v_cndmask_b32_e64 v0, 0, 1, s0
	v_bfe_u32 v15, v1, 20, 11
	v_cmp_gt_i32_e64 s0, 1, v14
	v_lshrrev_b32_e32 v1, 16, v1
	v_and_or_b32 v0, 0xffe, v19, v0
	s_delay_alu instid0(VALU_DEP_4)
	v_sub_nc_u32_e32 v6, 0x3f1, v15
	s_wait_alu 0xf1ff
	v_cndmask_b32_e64 v19, v24, v7, s0
	v_cmp_eq_u32_e64 s0, 0x40f, v23
	v_add_nc_u32_e32 v15, 0xfffffc10, v15
	v_or_b32_e32 v24, 0x1000, v0
	v_med3_i32 v25, v6, 0, 13
	v_and_b32_e32 v23, 7, v19
	v_cvt_f64_f32_e32 v[6:7], v17
	s_wait_alu 0xf1ff
	v_cndmask_b32_e64 v17, v22, v2, s0
	v_add_co_u32 v2, s0, v10, s6
	v_lshrrev_b32_e32 v26, v25, v24
	v_lshrrev_b32_e32 v22, 16, v3
	s_wait_alu 0xf1ff
	v_add_co_ci_u32_e64 v3, s0, s7, v11, s0
	v_cmp_lt_i32_e64 s0, 5, v23
	v_cmp_eq_u32_e64 s1, 3, v23
	v_lshrrev_b32_e32 v19, 2, v19
	v_lshlrev_b32_e32 v25, v25, v26
	v_and_or_b32 v17, 0x8000, v22, v17
	v_mul_f64_e32 v[12:13], s[10:11], v[12:13]
	s_or_b32 s0, s1, s0
	v_lshl_or_b32 v23, v15, 12, v0
	s_wait_alu 0xfffe
	v_add_co_ci_u32_e64 v19, s0, 0, v19, s0
	v_cmp_ne_u32_e64 s2, v25, v24
	v_cmp_ne_u32_e64 s0, 0, v16
	v_and_or_b32 v4, 0x1ff, v5, v4
	s_wait_alu 0xf1ff
	s_delay_alu instid0(VALU_DEP_3) | instskip(NEXT) | instid1(VALU_DEP_3)
	v_cndmask_b32_e64 v22, 0, 1, s2
	v_cndmask_b32_e64 v16, 0, 1, s0
	v_cmp_gt_i32_e64 s0, 31, v14
	s_delay_alu instid0(VALU_DEP_3) | instskip(NEXT) | instid1(VALU_DEP_3)
	v_or_b32_e32 v22, v26, v22
	v_lshl_or_b32 v16, v16, 9, 0x7c00
	s_wait_alu 0xf1ff
	s_delay_alu instid0(VALU_DEP_3) | instskip(SKIP_2) | instid1(VALU_DEP_1)
	v_cndmask_b32_e64 v19, 0x7c00, v19, s0
	v_cmp_gt_i32_e64 s0, 1, v15
	s_wait_alu 0xf1ff
	v_cndmask_b32_e64 v22, v23, v22, s0
	v_cmp_eq_u32_e64 s0, 0x40f, v14
	v_mul_f64_e32 v[6:7], s[10:11], v[6:7]
	v_bfe_u32 v23, v5, 20, 11
	s_wait_alu 0xf1ff
	s_delay_alu instid0(VALU_DEP_3)
	v_cndmask_b32_e64 v14, v19, v16, s0
	v_cmp_ne_u32_e64 s0, 0, v4
	v_and_b32_e32 v16, 7, v22
	v_lshrrev_b32_e32 v19, 8, v5
	v_lshrrev_b32_e32 v5, 16, v5
	v_and_or_b32 v8, 0x8000, v8, v14
	v_and_b32_e32 v14, 0xffff, v17
	s_wait_alu 0xf1ff
	v_cndmask_b32_e64 v4, 0, 1, s0
	v_cmp_lt_i32_e64 s0, 5, v16
	v_cmp_eq_u32_e64 s1, 3, v16
	v_sub_nc_u32_e32 v17, 0x3f1, v23
	v_lshl_or_b32 v8, v8, 16, v14
	v_lshrrev_b32_e32 v14, 2, v22
	v_and_or_b32 v4, 0xffe, v19, v4
	s_or_b32 s0, s1, s0
	v_med3_i32 v17, v17, 0, 13
	v_and_or_b32 v12, 0x1ff, v13, v12
	s_wait_alu 0xfffe
	v_add_co_ci_u32_e64 v14, s0, 0, v14, s0
	v_or_b32_e32 v16, 0x1000, v4
	v_cmp_ne_u32_e64 s0, 0, v0
	v_lshrrev_b32_e32 v22, 8, v13
	v_bfe_u32 v24, v13, 20, 11
	v_lshrrev_b32_e32 v13, 16, v13
	v_lshrrev_b32_e32 v19, v17, v16
	s_wait_alu 0xf1ff
	v_cndmask_b32_e64 v0, 0, 1, s0
	v_cmp_gt_i32_e64 s0, 31, v15
	s_delay_alu instid0(VALU_DEP_3) | instskip(NEXT) | instid1(VALU_DEP_3)
	v_lshlrev_b32_e32 v17, v17, v19
	v_lshl_or_b32 v0, v0, 9, 0x7c00
	s_wait_alu 0xf1ff
	s_delay_alu instid0(VALU_DEP_3) | instskip(SKIP_3) | instid1(VALU_DEP_2)
	v_cndmask_b32_e64 v14, 0x7c00, v14, s0
	v_cmp_ne_u32_e64 s0, 0, v12
	v_and_or_b32 v6, 0x1ff, v7, v6
	s_wait_alu 0xf1ff
	v_cndmask_b32_e64 v12, 0, 1, s0
	v_cmp_ne_u32_e64 s0, v17, v16
	v_add_nc_u32_e32 v17, 0xfffffc10, v23
	v_bfe_u32 v23, v7, 20, 11
	s_delay_alu instid0(VALU_DEP_4)
	v_and_or_b32 v12, 0xffe, v22, v12
	s_wait_alu 0xf1ff
	v_cndmask_b32_e64 v16, 0, 1, s0
	v_sub_nc_u32_e32 v22, 0x3f1, v24
	v_cmp_eq_u32_e64 s0, 0x40f, v15
	v_lshl_or_b32 v15, v17, 12, v4
	s_wait_alu 0xf1ff
	s_delay_alu instid0(VALU_DEP_2)
	v_cndmask_b32_e64 v0, v14, v0, s0
	v_or_b32_e32 v14, v19, v16
	v_or_b32_e32 v16, 0x1000, v12
	v_med3_i32 v19, v22, 0, 13
	v_cmp_gt_i32_e64 s0, 1, v17
	v_lshrrev_b32_e32 v22, 8, v7
	v_and_or_b32 v0, 0x8000, v1, v0
	s_wait_alu 0xf1ff
	s_delay_alu instid0(VALU_DEP_3) | instskip(SKIP_3) | instid1(VALU_DEP_4)
	v_cndmask_b32_e64 v14, v15, v14, s0
	v_lshrrev_b32_e32 v15, v19, v16
	v_cmp_ne_u32_e64 s0, 0, v6
	v_and_b32_e32 v0, 0xffff, v0
	v_and_b32_e32 v25, 7, v14
	s_delay_alu instid0(VALU_DEP_4)
	v_lshlrev_b32_e32 v19, v19, v15
	s_wait_alu 0xf1ff
	v_cndmask_b32_e64 v6, 0, 1, s0
	v_lshrrev_b32_e32 v14, 2, v14
	v_cmp_lt_i32_e64 s0, 5, v25
	v_cmp_ne_u32_e64 s1, v19, v16
	s_delay_alu instid0(VALU_DEP_4)
	v_and_or_b32 v1, 0xffe, v22, v6
	v_sub_nc_u32_e32 v6, 0x3f1, v23
	v_add_nc_u32_e32 v22, 0xfffffc10, v24
	s_wait_alu 0xf1ff
	v_cndmask_b32_e64 v16, 0, 1, s1
	v_cmp_eq_u32_e64 s1, 3, v25
	v_or_b32_e32 v19, 0x1000, v1
	v_med3_i32 v6, v6, 0, 13
	v_lshl_or_b32 v24, v22, 12, v12
	v_or_b32_e32 v15, v15, v16
	s_or_b32 s0, s1, s0
	s_wait_alu 0xfffe
	v_add_co_ci_u32_e64 v14, s0, 0, v14, s0
	v_lshrrev_b32_e32 v16, v6, v19
	v_cmp_gt_i32_e64 s0, 1, v22
	s_delay_alu instid0(VALU_DEP_2) | instskip(SKIP_1) | instid1(VALU_DEP_2)
	v_lshlrev_b32_e32 v6, v6, v16
	s_wait_alu 0xf1ff
	v_cndmask_b32_e64 v15, v24, v15, s0
	v_cmp_ne_u32_e64 s0, 0, v4
	s_wait_alu 0xf1ff
	s_delay_alu instid0(VALU_DEP_1) | instskip(SKIP_3) | instid1(VALU_DEP_4)
	v_cndmask_b32_e64 v4, 0, 1, s0
	v_cmp_ne_u32_e64 s0, v6, v19
	v_add_nc_u32_e32 v19, 0xfffffc10, v23
	v_and_b32_e32 v23, 7, v15
	v_lshl_or_b32 v4, v4, 9, 0x7c00
	s_wait_alu 0xf1ff
	v_cndmask_b32_e64 v6, 0, 1, s0
	v_cmp_gt_i32_e64 s0, 31, v17
	v_cmp_gt_i32_e64 s2, 1, v19
	v_cmp_eq_u32_e64 s1, 3, v23
	s_delay_alu instid0(VALU_DEP_4) | instskip(SKIP_4) | instid1(VALU_DEP_3)
	v_or_b32_e32 v6, v16, v6
	v_lshl_or_b32 v16, v19, 12, v1
	s_wait_alu 0xf1ff
	v_cndmask_b32_e64 v14, 0x7c00, v14, s0
	v_cmp_lt_i32_e64 s0, 5, v23
	v_cndmask_b32_e64 v6, v16, v6, s2
	v_cmp_eq_u32_e64 s2, 0x40f, v17
	s_delay_alu instid0(VALU_DEP_3) | instskip(NEXT) | instid1(VALU_DEP_1)
	s_or_b32 s0, s1, s0
	v_cndmask_b32_e64 v4, v14, v4, s2
	v_lshrrev_b32_e32 v14, 2, v15
	v_and_b32_e32 v15, 7, v6
	v_lshrrev_b32_e32 v6, 2, v6
	v_cmp_gt_i32_e64 s2, 31, v22
	s_wait_alu 0xfffe
	v_add_co_ci_u32_e64 v14, s0, 0, v14, s0
	v_cmp_ne_u32_e64 s0, 0, v12
	v_cmp_eq_u32_e64 s1, 3, v15
	s_wait_alu 0xf1ff
	s_delay_alu instid0(VALU_DEP_3) | instskip(NEXT) | instid1(VALU_DEP_3)
	v_cndmask_b32_e64 v14, 0x7c00, v14, s2
	v_cndmask_b32_e64 v12, 0, 1, s0
	v_cmp_lt_i32_e64 s0, 5, v15
	s_delay_alu instid0(VALU_DEP_2) | instskip(NEXT) | instid1(VALU_DEP_2)
	v_lshl_or_b32 v12, v12, 9, 0x7c00
	s_or_b32 s0, s1, s0
	s_wait_alu 0xfffe
	v_add_co_ci_u32_e64 v6, s0, 0, v6, s0
	v_cmp_ne_u32_e64 s0, 0, v1
	s_wait_alu 0xf1ff
	s_delay_alu instid0(VALU_DEP_1) | instskip(SKIP_1) | instid1(VALU_DEP_2)
	v_cndmask_b32_e64 v1, 0, 1, s0
	v_cmp_eq_u32_e64 s0, 0x40f, v22
	v_lshl_or_b32 v1, v1, 9, 0x7c00
	s_wait_alu 0xf1ff
	s_delay_alu instid0(VALU_DEP_2) | instskip(SKIP_2) | instid1(VALU_DEP_3)
	v_cndmask_b32_e64 v12, v14, v12, s0
	v_cmp_gt_i32_e64 s0, 31, v19
	v_and_or_b32 v14, 0x8000, v5, v4
	v_and_or_b32 v12, 0x8000, v13, v12
	s_wait_alu 0xf1ff
	s_delay_alu instid0(VALU_DEP_3) | instskip(SKIP_3) | instid1(VALU_DEP_2)
	v_cndmask_b32_e64 v6, 0x7c00, v6, s0
	v_cmp_eq_u32_e64 s0, 0x40f, v19
	v_lshl_or_b32 v13, v14, 16, v0
	s_wait_alu 0xf1ff
	v_cndmask_b32_e64 v1, v6, v1, s0
	v_lshrrev_b32_e32 v6, 16, v7
	v_add_co_u32 v4, s0, v2, s4
	s_wait_alu 0xf1ff
	v_add_co_ci_u32_e64 v5, s0, s5, v3, s0
	s_delay_alu instid0(VALU_DEP_3) | instskip(SKIP_4) | instid1(VALU_DEP_3)
	v_and_or_b32 v0, 0x8000, v6, v1
	v_and_b32_e32 v1, 0xffff, v12
	v_add_co_u32 v6, s0, v4, s6
	s_wait_alu 0xf1ff
	v_add_co_ci_u32_e64 v7, s0, s7, v5, s0
	v_lshl_or_b32 v12, v0, 16, v1
	s_delay_alu instid0(VALU_DEP_3) | instskip(SKIP_1) | instid1(VALU_DEP_3)
	v_add_co_u32 v0, s0, v6, s6
	s_wait_alu 0xf1ff
	v_add_co_ci_u32_e64 v1, s0, s7, v7, s0
	global_store_b32 v[10:11], v18, off
	global_store_b32 v[2:3], v9, off
	;; [unrolled: 1-line block ×5, first 2 shown]
	s_and_b32 exec_lo, exec_lo, vcc_lo
	s_cbranch_execz .LBB0_23
; %bb.22:
	global_load_b32 v4, v[20:21], off offset:816
	v_add_nc_u32_e32 v2, 0x300, v41
	ds_load_2addr_b32 v[2:3], v2 offset0:12 offset1:250
	s_wait_dscnt 0x0
	v_lshrrev_b32_e32 v5, 16, v2
	s_wait_loadcnt 0x0
	v_lshrrev_b32_e32 v6, 16, v4
	s_delay_alu instid0(VALU_DEP_1) | instskip(SKIP_1) | instid1(VALU_DEP_2)
	v_mul_f16_e32 v7, v5, v6
	v_mul_f16_e32 v6, v2, v6
	v_fmac_f16_e32 v7, v2, v4
	s_delay_alu instid0(VALU_DEP_2) | instskip(NEXT) | instid1(VALU_DEP_2)
	v_fma_f16 v2, v4, v5, -v6
	v_cvt_f32_f16_e32 v4, v7
	s_delay_alu instid0(VALU_DEP_2) | instskip(NEXT) | instid1(VALU_DEP_2)
	v_cvt_f32_f16_e32 v2, v2
	v_cvt_f64_f32_e32 v[4:5], v4
	s_delay_alu instid0(VALU_DEP_2) | instskip(NEXT) | instid1(VALU_DEP_2)
	v_cvt_f64_f32_e32 v[6:7], v2
	v_mul_f64_e32 v[4:5], s[10:11], v[4:5]
	s_delay_alu instid0(VALU_DEP_2) | instskip(NEXT) | instid1(VALU_DEP_2)
	v_mul_f64_e32 v[6:7], s[10:11], v[6:7]
	v_and_or_b32 v2, 0x1ff, v5, v4
	s_delay_alu instid0(VALU_DEP_2)
	v_and_or_b32 v6, 0x1ff, v7, v6
	v_lshrrev_b32_e32 v4, 8, v5
	v_bfe_u32 v8, v5, 20, 11
	v_lshrrev_b32_e32 v9, 8, v7
	v_cmp_ne_u32_e32 vcc_lo, 0, v2
	v_bfe_u32 v10, v7, 20, 11
	v_lshrrev_b32_e32 v5, 16, v5
	v_sub_nc_u32_e32 v11, 0x3f1, v8
	v_add_nc_u32_e32 v8, 0xfffffc10, v8
	s_wait_alu 0xfffd
	v_cndmask_b32_e64 v2, 0, 1, vcc_lo
	v_cmp_ne_u32_e32 vcc_lo, 0, v6
	v_lshrrev_b32_e32 v7, 16, v7
	s_delay_alu instid0(VALU_DEP_3) | instskip(SKIP_4) | instid1(VALU_DEP_3)
	v_and_or_b32 v2, 0xffe, v4, v2
	s_wait_alu 0xfffd
	v_cndmask_b32_e64 v6, 0, 1, vcc_lo
	v_sub_nc_u32_e32 v4, 0x3f1, v10
	v_add_nc_u32_e32 v10, 0xfffffc10, v10
	v_and_or_b32 v6, 0xffe, v9, v6
	v_med3_i32 v9, v11, 0, 13
	v_or_b32_e32 v11, 0x1000, v2
	v_med3_i32 v4, v4, 0, 13
	s_delay_alu instid0(VALU_DEP_4) | instskip(NEXT) | instid1(VALU_DEP_3)
	v_or_b32_e32 v12, 0x1000, v6
	v_lshrrev_b32_e32 v13, v9, v11
	s_delay_alu instid0(VALU_DEP_2) | instskip(NEXT) | instid1(VALU_DEP_2)
	v_lshrrev_b32_e32 v14, v4, v12
	v_lshlrev_b32_e32 v9, v9, v13
	s_delay_alu instid0(VALU_DEP_1) | instskip(SKIP_3) | instid1(VALU_DEP_1)
	v_cmp_ne_u32_e32 vcc_lo, v9, v11
	v_lshl_or_b32 v11, v8, 12, v2
	s_wait_alu 0xfffd
	v_cndmask_b32_e64 v9, 0, 1, vcc_lo
	v_or_b32_e32 v9, v13, v9
	v_lshlrev_b32_e32 v4, v4, v14
	s_delay_alu instid0(VALU_DEP_1) | instskip(SKIP_4) | instid1(VALU_DEP_2)
	v_cmp_ne_u32_e32 vcc_lo, v4, v12
	v_lshl_or_b32 v12, v10, 12, v6
	s_wait_alu 0xfffd
	v_cndmask_b32_e64 v4, 0, 1, vcc_lo
	v_cmp_gt_i32_e32 vcc_lo, 1, v8
	v_or_b32_e32 v4, v14, v4
	s_wait_alu 0xfffd
	v_cndmask_b32_e32 v9, v11, v9, vcc_lo
	v_cmp_gt_i32_e32 vcc_lo, 1, v10
	s_wait_alu 0xfffd
	s_delay_alu instid0(VALU_DEP_2) | instskip(SKIP_2) | instid1(VALU_DEP_3)
	v_dual_cndmask_b32 v4, v12, v4 :: v_dual_and_b32 v11, 7, v9
	v_cmp_ne_u32_e32 vcc_lo, 0, v2
	v_lshrrev_b32_e32 v9, 2, v9
	v_cmp_eq_u32_e64 s0, 3, v11
	s_wait_alu 0xfffd
	v_cndmask_b32_e64 v2, 0, 1, vcc_lo
	v_cmp_ne_u32_e32 vcc_lo, 0, v6
	s_delay_alu instid0(VALU_DEP_2) | instskip(SKIP_3) | instid1(VALU_DEP_2)
	v_lshl_or_b32 v2, v2, 9, 0x7c00
	s_wait_alu 0xfffd
	v_cndmask_b32_e64 v6, 0, 1, vcc_lo
	v_cmp_lt_i32_e32 vcc_lo, 5, v11
	v_lshl_or_b32 v6, v6, 9, 0x7c00
	s_or_b32 vcc_lo, s0, vcc_lo
	s_wait_alu 0xfffe
	v_add_co_ci_u32_e32 v9, vcc_lo, 0, v9, vcc_lo
	v_and_b32_e32 v12, 7, v4
	v_lshrrev_b32_e32 v4, 2, v4
	s_delay_alu instid0(VALU_DEP_2) | instskip(SKIP_1) | instid1(VALU_DEP_1)
	v_cmp_lt_i32_e64 s1, 5, v12
	v_cmp_eq_u32_e64 s2, 3, v12
	s_or_b32 vcc_lo, s2, s1
	s_wait_alu 0xfffe
	v_add_co_ci_u32_e32 v4, vcc_lo, 0, v4, vcc_lo
	v_cmp_gt_i32_e32 vcc_lo, 31, v8
	s_wait_alu 0xfffd
	v_cndmask_b32_e32 v9, 0x7c00, v9, vcc_lo
	v_cmp_gt_i32_e32 vcc_lo, 31, v10
	s_wait_alu 0xfffd
	v_cndmask_b32_e32 v4, 0x7c00, v4, vcc_lo
	v_cmp_eq_u32_e32 vcc_lo, 0x40f, v8
	s_wait_alu 0xfffd
	v_cndmask_b32_e32 v2, v9, v2, vcc_lo
	v_cmp_eq_u32_e32 vcc_lo, 0x40f, v10
	s_delay_alu instid0(VALU_DEP_2)
	v_and_or_b32 v2, 0x8000, v5, v2
	s_wait_alu 0xfffd
	v_cndmask_b32_e32 v4, v4, v6, vcc_lo
	v_add_co_u32 v0, vcc_lo, v0, s4
	s_wait_alu 0xfffd
	v_add_co_ci_u32_e32 v1, vcc_lo, s5, v1, vcc_lo
	s_delay_alu instid0(VALU_DEP_3) | instskip(SKIP_1) | instid1(VALU_DEP_1)
	v_and_or_b32 v4, 0x8000, v7, v4
	v_and_b32_e32 v2, 0xffff, v2
	v_lshl_or_b32 v2, v4, 16, v2
	v_lshrrev_b32_e32 v4, 16, v3
	global_store_b32 v[0:1], v2, off
	global_load_b32 v2, v[20:21], off offset:1768
	s_wait_loadcnt 0x0
	v_lshrrev_b32_e32 v5, 16, v2
	s_delay_alu instid0(VALU_DEP_1) | instskip(SKIP_1) | instid1(VALU_DEP_2)
	v_mul_f16_e32 v6, v4, v5
	v_mul_f16_e32 v5, v3, v5
	v_fmac_f16_e32 v6, v3, v2
	s_delay_alu instid0(VALU_DEP_2) | instskip(NEXT) | instid1(VALU_DEP_2)
	v_fma_f16 v2, v2, v4, -v5
	v_cvt_f32_f16_e32 v3, v6
	s_delay_alu instid0(VALU_DEP_2) | instskip(NEXT) | instid1(VALU_DEP_2)
	v_cvt_f32_f16_e32 v4, v2
	v_cvt_f64_f32_e32 v[2:3], v3
	s_delay_alu instid0(VALU_DEP_2) | instskip(NEXT) | instid1(VALU_DEP_2)
	v_cvt_f64_f32_e32 v[4:5], v4
	v_mul_f64_e32 v[2:3], s[10:11], v[2:3]
	s_delay_alu instid0(VALU_DEP_2) | instskip(NEXT) | instid1(VALU_DEP_2)
	v_mul_f64_e32 v[4:5], s[10:11], v[4:5]
	v_and_or_b32 v2, 0x1ff, v3, v2
	s_delay_alu instid0(VALU_DEP_2)
	v_and_or_b32 v4, 0x1ff, v5, v4
	v_lshrrev_b32_e32 v6, 8, v3
	v_bfe_u32 v7, v3, 20, 11
	v_lshrrev_b32_e32 v8, 8, v5
	v_cmp_ne_u32_e32 vcc_lo, 0, v2
	v_bfe_u32 v9, v5, 20, 11
	v_lshrrev_b32_e32 v3, 16, v3
	v_sub_nc_u32_e32 v10, 0x3f1, v7
	v_add_nc_u32_e32 v7, 0xfffffc10, v7
	s_wait_alu 0xfffd
	v_cndmask_b32_e64 v2, 0, 1, vcc_lo
	v_cmp_ne_u32_e32 vcc_lo, 0, v4
	v_lshrrev_b32_e32 v5, 16, v5
	s_delay_alu instid0(VALU_DEP_3) | instskip(SKIP_4) | instid1(VALU_DEP_3)
	v_and_or_b32 v2, 0xffe, v6, v2
	s_wait_alu 0xfffd
	v_cndmask_b32_e64 v4, 0, 1, vcc_lo
	v_sub_nc_u32_e32 v6, 0x3f1, v9
	v_add_nc_u32_e32 v9, 0xfffffc10, v9
	v_and_or_b32 v4, 0xffe, v8, v4
	v_med3_i32 v8, v10, 0, 13
	v_or_b32_e32 v10, 0x1000, v2
	v_med3_i32 v6, v6, 0, 13
	s_delay_alu instid0(VALU_DEP_4) | instskip(NEXT) | instid1(VALU_DEP_3)
	v_or_b32_e32 v11, 0x1000, v4
	v_lshrrev_b32_e32 v12, v8, v10
	s_delay_alu instid0(VALU_DEP_2) | instskip(NEXT) | instid1(VALU_DEP_2)
	v_lshrrev_b32_e32 v13, v6, v11
	v_lshlrev_b32_e32 v8, v8, v12
	s_delay_alu instid0(VALU_DEP_2) | instskip(NEXT) | instid1(VALU_DEP_2)
	v_lshlrev_b32_e32 v6, v6, v13
	v_cmp_ne_u32_e32 vcc_lo, v8, v10
	v_lshl_or_b32 v10, v7, 12, v2
	s_wait_alu 0xfffd
	v_cndmask_b32_e64 v8, 0, 1, vcc_lo
	v_cmp_ne_u32_e32 vcc_lo, v6, v11
	v_lshl_or_b32 v11, v9, 12, v4
	s_delay_alu instid0(VALU_DEP_3) | instskip(SKIP_3) | instid1(VALU_DEP_2)
	v_or_b32_e32 v8, v12, v8
	s_wait_alu 0xfffd
	v_cndmask_b32_e64 v6, 0, 1, vcc_lo
	v_cmp_gt_i32_e32 vcc_lo, 1, v7
	v_or_b32_e32 v6, v13, v6
	s_wait_alu 0xfffd
	v_cndmask_b32_e32 v8, v10, v8, vcc_lo
	v_cmp_gt_i32_e32 vcc_lo, 1, v9
	s_wait_alu 0xfffd
	v_cndmask_b32_e32 v6, v11, v6, vcc_lo
	v_cmp_ne_u32_e32 vcc_lo, 0, v2
	s_delay_alu instid0(VALU_DEP_2)
	v_and_b32_e32 v11, 7, v6
	s_wait_alu 0xfffd
	v_cndmask_b32_e64 v2, 0, 1, vcc_lo
	v_and_b32_e32 v10, 7, v8
	v_cmp_ne_u32_e32 vcc_lo, 0, v4
	v_lshrrev_b32_e32 v8, 2, v8
	v_cmp_lt_i32_e64 s1, 5, v11
	v_cmp_eq_u32_e64 s2, 3, v11
	v_cmp_eq_u32_e64 s0, 3, v10
	s_wait_alu 0xfffd
	v_cndmask_b32_e64 v4, 0, 1, vcc_lo
	v_cmp_lt_i32_e32 vcc_lo, 5, v10
	v_lshrrev_b32_e32 v6, 2, v6
	v_lshl_or_b32 v2, v2, 9, 0x7c00
	s_delay_alu instid0(VALU_DEP_4)
	v_lshl_or_b32 v4, v4, 9, 0x7c00
	s_or_b32 vcc_lo, s0, vcc_lo
	s_wait_alu 0xfffe
	v_add_co_ci_u32_e32 v8, vcc_lo, 0, v8, vcc_lo
	s_or_b32 vcc_lo, s2, s1
	s_wait_alu 0xfffe
	v_add_co_ci_u32_e32 v6, vcc_lo, 0, v6, vcc_lo
	v_cmp_gt_i32_e32 vcc_lo, 31, v7
	s_wait_alu 0xfffd
	v_cndmask_b32_e32 v8, 0x7c00, v8, vcc_lo
	v_cmp_gt_i32_e32 vcc_lo, 31, v9
	s_wait_alu 0xfffd
	v_cndmask_b32_e32 v6, 0x7c00, v6, vcc_lo
	v_cmp_eq_u32_e32 vcc_lo, 0x40f, v7
	s_wait_alu 0xfffd
	v_cndmask_b32_e32 v2, v8, v2, vcc_lo
	v_cmp_eq_u32_e32 vcc_lo, 0x40f, v9
	s_delay_alu instid0(VALU_DEP_2)
	v_and_or_b32 v2, 0x8000, v3, v2
	s_wait_alu 0xfffd
	v_cndmask_b32_e32 v4, v6, v4, vcc_lo
	v_add_co_u32 v0, vcc_lo, v0, s6
	s_wait_alu 0xfffd
	v_add_co_ci_u32_e32 v1, vcc_lo, s7, v1, vcc_lo
	s_delay_alu instid0(VALU_DEP_3) | instskip(SKIP_1) | instid1(VALU_DEP_1)
	v_and_or_b32 v3, 0x8000, v5, v4
	v_and_b32_e32 v2, 0xffff, v2
	v_lshl_or_b32 v2, v3, 16, v2
	ds_load_b32 v3, v41 offset:2720
	global_store_b32 v[0:1], v2, off
	global_load_b32 v2, v[20:21], off offset:2720
	s_wait_dscnt 0x0
	v_lshrrev_b32_e32 v4, 16, v3
	s_wait_loadcnt 0x0
	v_lshrrev_b32_e32 v5, 16, v2
	s_delay_alu instid0(VALU_DEP_1) | instskip(SKIP_1) | instid1(VALU_DEP_2)
	v_mul_f16_e32 v6, v4, v5
	v_mul_f16_e32 v5, v3, v5
	v_fmac_f16_e32 v6, v3, v2
	s_delay_alu instid0(VALU_DEP_2) | instskip(NEXT) | instid1(VALU_DEP_2)
	v_fma_f16 v2, v2, v4, -v5
	v_cvt_f32_f16_e32 v3, v6
	s_delay_alu instid0(VALU_DEP_2) | instskip(NEXT) | instid1(VALU_DEP_2)
	v_cvt_f32_f16_e32 v4, v2
	v_cvt_f64_f32_e32 v[2:3], v3
	s_delay_alu instid0(VALU_DEP_2) | instskip(NEXT) | instid1(VALU_DEP_2)
	v_cvt_f64_f32_e32 v[4:5], v4
	v_mul_f64_e32 v[2:3], s[10:11], v[2:3]
	s_delay_alu instid0(VALU_DEP_2) | instskip(NEXT) | instid1(VALU_DEP_2)
	v_mul_f64_e32 v[4:5], s[10:11], v[4:5]
	v_and_or_b32 v2, 0x1ff, v3, v2
	s_delay_alu instid0(VALU_DEP_2)
	v_and_or_b32 v4, 0x1ff, v5, v4
	v_lshrrev_b32_e32 v6, 8, v3
	v_bfe_u32 v7, v3, 20, 11
	v_lshrrev_b32_e32 v8, 8, v5
	v_cmp_ne_u32_e32 vcc_lo, 0, v2
	v_bfe_u32 v9, v5, 20, 11
	v_lshrrev_b32_e32 v3, 16, v3
	v_sub_nc_u32_e32 v10, 0x3f1, v7
	v_add_nc_u32_e32 v7, 0xfffffc10, v7
	s_wait_alu 0xfffd
	v_cndmask_b32_e64 v2, 0, 1, vcc_lo
	v_cmp_ne_u32_e32 vcc_lo, 0, v4
	v_lshrrev_b32_e32 v5, 16, v5
	s_delay_alu instid0(VALU_DEP_3) | instskip(SKIP_4) | instid1(VALU_DEP_3)
	v_and_or_b32 v2, 0xffe, v6, v2
	s_wait_alu 0xfffd
	v_cndmask_b32_e64 v4, 0, 1, vcc_lo
	v_sub_nc_u32_e32 v6, 0x3f1, v9
	v_add_nc_u32_e32 v9, 0xfffffc10, v9
	v_and_or_b32 v4, 0xffe, v8, v4
	v_med3_i32 v8, v10, 0, 13
	v_or_b32_e32 v10, 0x1000, v2
	v_med3_i32 v6, v6, 0, 13
	s_delay_alu instid0(VALU_DEP_4) | instskip(NEXT) | instid1(VALU_DEP_3)
	v_or_b32_e32 v11, 0x1000, v4
	v_lshrrev_b32_e32 v12, v8, v10
	s_delay_alu instid0(VALU_DEP_2) | instskip(NEXT) | instid1(VALU_DEP_2)
	v_lshrrev_b32_e32 v13, v6, v11
	v_lshlrev_b32_e32 v8, v8, v12
	s_delay_alu instid0(VALU_DEP_2) | instskip(NEXT) | instid1(VALU_DEP_2)
	v_lshlrev_b32_e32 v6, v6, v13
	v_cmp_ne_u32_e32 vcc_lo, v8, v10
	v_lshl_or_b32 v10, v7, 12, v2
	s_wait_alu 0xfffd
	v_cndmask_b32_e64 v8, 0, 1, vcc_lo
	v_cmp_ne_u32_e32 vcc_lo, v6, v11
	v_lshl_or_b32 v11, v9, 12, v4
	s_delay_alu instid0(VALU_DEP_3) | instskip(SKIP_3) | instid1(VALU_DEP_2)
	v_or_b32_e32 v8, v12, v8
	s_wait_alu 0xfffd
	v_cndmask_b32_e64 v6, 0, 1, vcc_lo
	v_cmp_gt_i32_e32 vcc_lo, 1, v7
	v_or_b32_e32 v6, v13, v6
	s_wait_alu 0xfffd
	v_cndmask_b32_e32 v8, v10, v8, vcc_lo
	v_cmp_gt_i32_e32 vcc_lo, 1, v9
	s_delay_alu instid0(VALU_DEP_2)
	v_and_b32_e32 v10, 7, v8
	s_wait_alu 0xfffd
	v_cndmask_b32_e32 v6, v11, v6, vcc_lo
	v_cmp_ne_u32_e32 vcc_lo, 0, v2
	v_lshrrev_b32_e32 v8, 2, v8
	v_cmp_eq_u32_e64 s0, 3, v10
	s_delay_alu instid0(VALU_DEP_4)
	v_and_b32_e32 v11, 7, v6
	s_wait_alu 0xfffd
	v_cndmask_b32_e64 v2, 0, 1, vcc_lo
	v_cmp_ne_u32_e32 vcc_lo, 0, v4
	v_lshrrev_b32_e32 v6, 2, v6
	v_cmp_lt_i32_e64 s1, 5, v11
	v_cmp_eq_u32_e64 s2, 3, v11
	s_wait_alu 0xfffd
	v_cndmask_b32_e64 v4, 0, 1, vcc_lo
	v_cmp_lt_i32_e32 vcc_lo, 5, v10
	v_lshl_or_b32 v2, v2, 9, 0x7c00
	s_delay_alu instid0(VALU_DEP_3)
	v_lshl_or_b32 v4, v4, 9, 0x7c00
	s_or_b32 vcc_lo, s0, vcc_lo
	s_wait_alu 0xfffe
	v_add_co_ci_u32_e32 v8, vcc_lo, 0, v8, vcc_lo
	s_or_b32 vcc_lo, s2, s1
	s_wait_alu 0xfffe
	v_add_co_ci_u32_e32 v6, vcc_lo, 0, v6, vcc_lo
	v_cmp_gt_i32_e32 vcc_lo, 31, v7
	s_wait_alu 0xfffd
	v_cndmask_b32_e32 v8, 0x7c00, v8, vcc_lo
	v_cmp_gt_i32_e32 vcc_lo, 31, v9
	s_wait_alu 0xfffd
	v_cndmask_b32_e32 v6, 0x7c00, v6, vcc_lo
	v_cmp_eq_u32_e32 vcc_lo, 0x40f, v7
	s_wait_alu 0xfffd
	v_cndmask_b32_e32 v2, v8, v2, vcc_lo
	v_cmp_eq_u32_e32 vcc_lo, 0x40f, v9
	s_delay_alu instid0(VALU_DEP_2)
	v_and_or_b32 v2, 0x8000, v3, v2
	s_wait_alu 0xfffd
	v_cndmask_b32_e32 v4, v6, v4, vcc_lo
	v_add_co_u32 v0, vcc_lo, v0, s6
	s_wait_alu 0xfffd
	v_add_co_ci_u32_e32 v1, vcc_lo, s7, v1, vcc_lo
	s_delay_alu instid0(VALU_DEP_3) | instskip(SKIP_1) | instid1(VALU_DEP_1)
	v_and_or_b32 v3, 0x8000, v5, v4
	v_and_b32_e32 v2, 0xffff, v2
	v_lshl_or_b32 v2, v3, 16, v2
	global_store_b32 v[0:1], v2, off
.LBB0_23:
	s_nop 0
	s_sendmsg sendmsg(MSG_DEALLOC_VGPRS)
	s_endpgm
	.section	.rodata,"a",@progbits
	.p2align	6, 0x0
	.amdhsa_kernel bluestein_single_fwd_len714_dim1_half_op_CI_CI
		.amdhsa_group_segment_fixed_size 2856
		.amdhsa_private_segment_fixed_size 0
		.amdhsa_kernarg_size 104
		.amdhsa_user_sgpr_count 2
		.amdhsa_user_sgpr_dispatch_ptr 0
		.amdhsa_user_sgpr_queue_ptr 0
		.amdhsa_user_sgpr_kernarg_segment_ptr 1
		.amdhsa_user_sgpr_dispatch_id 0
		.amdhsa_user_sgpr_private_segment_size 0
		.amdhsa_wavefront_size32 1
		.amdhsa_uses_dynamic_stack 0
		.amdhsa_enable_private_segment 0
		.amdhsa_system_sgpr_workgroup_id_x 1
		.amdhsa_system_sgpr_workgroup_id_y 0
		.amdhsa_system_sgpr_workgroup_id_z 0
		.amdhsa_system_sgpr_workgroup_info 0
		.amdhsa_system_vgpr_workitem_id 0
		.amdhsa_next_free_vgpr 230
		.amdhsa_next_free_sgpr 16
		.amdhsa_reserve_vcc 1
		.amdhsa_float_round_mode_32 0
		.amdhsa_float_round_mode_16_64 0
		.amdhsa_float_denorm_mode_32 3
		.amdhsa_float_denorm_mode_16_64 3
		.amdhsa_fp16_overflow 0
		.amdhsa_workgroup_processor_mode 1
		.amdhsa_memory_ordered 1
		.amdhsa_forward_progress 0
		.amdhsa_round_robin_scheduling 0
		.amdhsa_exception_fp_ieee_invalid_op 0
		.amdhsa_exception_fp_denorm_src 0
		.amdhsa_exception_fp_ieee_div_zero 0
		.amdhsa_exception_fp_ieee_overflow 0
		.amdhsa_exception_fp_ieee_underflow 0
		.amdhsa_exception_fp_ieee_inexact 0
		.amdhsa_exception_int_div_zero 0
	.end_amdhsa_kernel
	.text
.Lfunc_end0:
	.size	bluestein_single_fwd_len714_dim1_half_op_CI_CI, .Lfunc_end0-bluestein_single_fwd_len714_dim1_half_op_CI_CI
                                        ; -- End function
	.section	.AMDGPU.csdata,"",@progbits
; Kernel info:
; codeLenInByte = 35288
; NumSgprs: 18
; NumVgprs: 230
; ScratchSize: 0
; MemoryBound: 0
; FloatMode: 240
; IeeeMode: 1
; LDSByteSize: 2856 bytes/workgroup (compile time only)
; SGPRBlocks: 2
; VGPRBlocks: 28
; NumSGPRsForWavesPerEU: 18
; NumVGPRsForWavesPerEU: 230
; Occupancy: 6
; WaveLimiterHint : 1
; COMPUTE_PGM_RSRC2:SCRATCH_EN: 0
; COMPUTE_PGM_RSRC2:USER_SGPR: 2
; COMPUTE_PGM_RSRC2:TRAP_HANDLER: 0
; COMPUTE_PGM_RSRC2:TGID_X_EN: 1
; COMPUTE_PGM_RSRC2:TGID_Y_EN: 0
; COMPUTE_PGM_RSRC2:TGID_Z_EN: 0
; COMPUTE_PGM_RSRC2:TIDIG_COMP_CNT: 0
	.text
	.p2alignl 7, 3214868480
	.fill 96, 4, 3214868480
	.type	__hip_cuid_c06bcf00335bafa4,@object ; @__hip_cuid_c06bcf00335bafa4
	.section	.bss,"aw",@nobits
	.globl	__hip_cuid_c06bcf00335bafa4
__hip_cuid_c06bcf00335bafa4:
	.byte	0                               ; 0x0
	.size	__hip_cuid_c06bcf00335bafa4, 1

	.ident	"AMD clang version 19.0.0git (https://github.com/RadeonOpenCompute/llvm-project roc-6.4.0 25133 c7fe45cf4b819c5991fe208aaa96edf142730f1d)"
	.section	".note.GNU-stack","",@progbits
	.addrsig
	.addrsig_sym __hip_cuid_c06bcf00335bafa4
	.amdgpu_metadata
---
amdhsa.kernels:
  - .args:
      - .actual_access:  read_only
        .address_space:  global
        .offset:         0
        .size:           8
        .value_kind:     global_buffer
      - .actual_access:  read_only
        .address_space:  global
        .offset:         8
        .size:           8
        .value_kind:     global_buffer
      - .actual_access:  read_only
        .address_space:  global
        .offset:         16
        .size:           8
        .value_kind:     global_buffer
      - .actual_access:  read_only
        .address_space:  global
        .offset:         24
        .size:           8
        .value_kind:     global_buffer
      - .actual_access:  read_only
        .address_space:  global
        .offset:         32
        .size:           8
        .value_kind:     global_buffer
      - .offset:         40
        .size:           8
        .value_kind:     by_value
      - .address_space:  global
        .offset:         48
        .size:           8
        .value_kind:     global_buffer
      - .address_space:  global
        .offset:         56
        .size:           8
        .value_kind:     global_buffer
      - .address_space:  global
        .offset:         64
        .size:           8
        .value_kind:     global_buffer
      - .address_space:  global
        .offset:         72
        .size:           8
        .value_kind:     global_buffer
      - .offset:         80
        .size:           4
        .value_kind:     by_value
      - .address_space:  global
        .offset:         88
        .size:           8
        .value_kind:     global_buffer
      - .address_space:  global
        .offset:         96
        .size:           8
        .value_kind:     global_buffer
    .group_segment_fixed_size: 2856
    .kernarg_segment_align: 8
    .kernarg_segment_size: 104
    .language:       OpenCL C
    .language_version:
      - 2
      - 0
    .max_flat_workgroup_size: 51
    .name:           bluestein_single_fwd_len714_dim1_half_op_CI_CI
    .private_segment_fixed_size: 0
    .sgpr_count:     18
    .sgpr_spill_count: 0
    .symbol:         bluestein_single_fwd_len714_dim1_half_op_CI_CI.kd
    .uniform_work_group_size: 1
    .uses_dynamic_stack: false
    .vgpr_count:     230
    .vgpr_spill_count: 0
    .wavefront_size: 32
    .workgroup_processor_mode: 1
amdhsa.target:   amdgcn-amd-amdhsa--gfx1201
amdhsa.version:
  - 1
  - 2
...

	.end_amdgpu_metadata
